;; amdgpu-corpus repo=ROCm/rocFFT kind=compiled arch=gfx1201 opt=O3
	.text
	.amdgcn_target "amdgcn-amd-amdhsa--gfx1201"
	.amdhsa_code_object_version 6
	.protected	fft_rtc_fwd_len1512_factors_2_2_2_3_3_3_7_wgs_63_tpt_63_halfLds_dp_op_CI_CI_sbrr_dirReg ; -- Begin function fft_rtc_fwd_len1512_factors_2_2_2_3_3_3_7_wgs_63_tpt_63_halfLds_dp_op_CI_CI_sbrr_dirReg
	.globl	fft_rtc_fwd_len1512_factors_2_2_2_3_3_3_7_wgs_63_tpt_63_halfLds_dp_op_CI_CI_sbrr_dirReg
	.p2align	8
	.type	fft_rtc_fwd_len1512_factors_2_2_2_3_3_3_7_wgs_63_tpt_63_halfLds_dp_op_CI_CI_sbrr_dirReg,@function
fft_rtc_fwd_len1512_factors_2_2_2_3_3_3_7_wgs_63_tpt_63_halfLds_dp_op_CI_CI_sbrr_dirReg: ; @fft_rtc_fwd_len1512_factors_2_2_2_3_3_3_7_wgs_63_tpt_63_halfLds_dp_op_CI_CI_sbrr_dirReg
; %bb.0:
	s_clause 0x2
	s_load_b128 s[12:15], s[0:1], 0x18
	s_load_b128 s[4:7], s[0:1], 0x0
	;; [unrolled: 1-line block ×3, first 2 shown]
	v_mul_u32_u24_e32 v1, 0x411, v0
	v_mov_b32_e32 v4, 0
	v_mov_b32_e32 v5, 0
	s_wait_kmcnt 0x0
	s_load_b64 s[18:19], s[12:13], 0x0
	s_load_b64 s[16:17], s[14:15], 0x0
	v_lshrrev_b32_e32 v2, 16, v1
	v_mov_b32_e32 v1, 0
	v_cmp_lt_u64_e64 s2, s[6:7], 2
	s_delay_alu instid0(VALU_DEP_2) | instskip(NEXT) | instid1(VALU_DEP_2)
	v_dual_mov_b32 v7, v1 :: v_dual_add_nc_u32 v6, ttmp9, v2
	s_and_b32 vcc_lo, exec_lo, s2
	s_cbranch_vccnz .LBB0_8
; %bb.1:
	s_load_b64 s[2:3], s[0:1], 0x10
	v_mov_b32_e32 v4, 0
	v_mov_b32_e32 v5, 0
	s_add_nc_u64 s[20:21], s[14:15], 8
	s_add_nc_u64 s[22:23], s[12:13], 8
	s_mov_b64 s[24:25], 1
	s_delay_alu instid0(VALU_DEP_1)
	v_dual_mov_b32 v113, v5 :: v_dual_mov_b32 v112, v4
	s_wait_kmcnt 0x0
	s_add_nc_u64 s[26:27], s[2:3], 8
	s_mov_b32 s3, 0
.LBB0_2:                                ; =>This Inner Loop Header: Depth=1
	s_load_b64 s[28:29], s[26:27], 0x0
                                        ; implicit-def: $vgpr114_vgpr115
	s_mov_b32 s2, exec_lo
	s_wait_kmcnt 0x0
	v_or_b32_e32 v2, s29, v7
	s_delay_alu instid0(VALU_DEP_1)
	v_cmpx_ne_u64_e32 0, v[1:2]
	s_wait_alu 0xfffe
	s_xor_b32 s30, exec_lo, s2
	s_cbranch_execz .LBB0_4
; %bb.3:                                ;   in Loop: Header=BB0_2 Depth=1
	s_cvt_f32_u32 s2, s28
	s_cvt_f32_u32 s31, s29
	s_sub_nc_u64 s[36:37], 0, s[28:29]
	s_wait_alu 0xfffe
	s_delay_alu instid0(SALU_CYCLE_1) | instskip(SKIP_1) | instid1(SALU_CYCLE_2)
	s_fmamk_f32 s2, s31, 0x4f800000, s2
	s_wait_alu 0xfffe
	v_s_rcp_f32 s2, s2
	s_delay_alu instid0(TRANS32_DEP_1) | instskip(SKIP_1) | instid1(SALU_CYCLE_2)
	s_mul_f32 s2, s2, 0x5f7ffffc
	s_wait_alu 0xfffe
	s_mul_f32 s31, s2, 0x2f800000
	s_wait_alu 0xfffe
	s_delay_alu instid0(SALU_CYCLE_2) | instskip(SKIP_1) | instid1(SALU_CYCLE_2)
	s_trunc_f32 s31, s31
	s_wait_alu 0xfffe
	s_fmamk_f32 s2, s31, 0xcf800000, s2
	s_cvt_u32_f32 s35, s31
	s_wait_alu 0xfffe
	s_delay_alu instid0(SALU_CYCLE_1) | instskip(SKIP_1) | instid1(SALU_CYCLE_2)
	s_cvt_u32_f32 s34, s2
	s_wait_alu 0xfffe
	s_mul_u64 s[38:39], s[36:37], s[34:35]
	s_wait_alu 0xfffe
	s_mul_hi_u32 s41, s34, s39
	s_mul_i32 s40, s34, s39
	s_mul_hi_u32 s2, s34, s38
	s_mul_i32 s33, s35, s38
	s_wait_alu 0xfffe
	s_add_nc_u64 s[40:41], s[2:3], s[40:41]
	s_mul_hi_u32 s31, s35, s38
	s_mul_hi_u32 s42, s35, s39
	s_add_co_u32 s2, s40, s33
	s_wait_alu 0xfffe
	s_add_co_ci_u32 s2, s41, s31
	s_mul_i32 s38, s35, s39
	s_add_co_ci_u32 s39, s42, 0
	s_wait_alu 0xfffe
	s_add_nc_u64 s[38:39], s[2:3], s[38:39]
	s_wait_alu 0xfffe
	v_add_co_u32 v2, s2, s34, s38
	s_delay_alu instid0(VALU_DEP_1) | instskip(SKIP_1) | instid1(VALU_DEP_1)
	s_cmp_lg_u32 s2, 0
	s_add_co_ci_u32 s35, s35, s39
	v_readfirstlane_b32 s34, v2
	s_wait_alu 0xfffe
	s_delay_alu instid0(VALU_DEP_1)
	s_mul_u64 s[36:37], s[36:37], s[34:35]
	s_wait_alu 0xfffe
	s_mul_hi_u32 s39, s34, s37
	s_mul_i32 s38, s34, s37
	s_mul_hi_u32 s2, s34, s36
	s_mul_i32 s33, s35, s36
	s_wait_alu 0xfffe
	s_add_nc_u64 s[38:39], s[2:3], s[38:39]
	s_mul_hi_u32 s31, s35, s36
	s_mul_hi_u32 s34, s35, s37
	s_wait_alu 0xfffe
	s_add_co_u32 s2, s38, s33
	s_add_co_ci_u32 s2, s39, s31
	s_mul_i32 s36, s35, s37
	s_add_co_ci_u32 s37, s34, 0
	s_wait_alu 0xfffe
	s_add_nc_u64 s[36:37], s[2:3], s[36:37]
	s_wait_alu 0xfffe
	v_add_co_u32 v8, s2, v2, s36
	s_delay_alu instid0(VALU_DEP_1) | instskip(SKIP_1) | instid1(VALU_DEP_1)
	s_cmp_lg_u32 s2, 0
	s_add_co_ci_u32 s2, s35, s37
	v_mul_hi_u32 v12, v6, v8
	s_wait_alu 0xfffe
	v_mad_co_u64_u32 v[2:3], null, v6, s2, 0
	v_mad_co_u64_u32 v[8:9], null, v7, v8, 0
	;; [unrolled: 1-line block ×3, first 2 shown]
	s_delay_alu instid0(VALU_DEP_3) | instskip(SKIP_1) | instid1(VALU_DEP_4)
	v_add_co_u32 v2, vcc_lo, v12, v2
	s_wait_alu 0xfffd
	v_add_co_ci_u32_e32 v3, vcc_lo, 0, v3, vcc_lo
	s_delay_alu instid0(VALU_DEP_2) | instskip(SKIP_1) | instid1(VALU_DEP_2)
	v_add_co_u32 v2, vcc_lo, v2, v8
	s_wait_alu 0xfffd
	v_add_co_ci_u32_e32 v2, vcc_lo, v3, v9, vcc_lo
	s_wait_alu 0xfffd
	v_add_co_ci_u32_e32 v3, vcc_lo, 0, v11, vcc_lo
	s_delay_alu instid0(VALU_DEP_2) | instskip(SKIP_1) | instid1(VALU_DEP_2)
	v_add_co_u32 v8, vcc_lo, v2, v10
	s_wait_alu 0xfffd
	v_add_co_ci_u32_e32 v9, vcc_lo, 0, v3, vcc_lo
	s_delay_alu instid0(VALU_DEP_2) | instskip(SKIP_1) | instid1(VALU_DEP_3)
	v_mul_lo_u32 v10, s29, v8
	v_mad_co_u64_u32 v[2:3], null, s28, v8, 0
	v_mul_lo_u32 v11, s28, v9
	s_delay_alu instid0(VALU_DEP_2) | instskip(NEXT) | instid1(VALU_DEP_2)
	v_sub_co_u32 v2, vcc_lo, v6, v2
	v_add3_u32 v3, v3, v11, v10
	s_delay_alu instid0(VALU_DEP_1) | instskip(SKIP_1) | instid1(VALU_DEP_1)
	v_sub_nc_u32_e32 v10, v7, v3
	s_wait_alu 0xfffd
	v_subrev_co_ci_u32_e64 v10, s2, s29, v10, vcc_lo
	v_add_co_u32 v11, s2, v8, 2
	s_wait_alu 0xf1ff
	v_add_co_ci_u32_e64 v12, s2, 0, v9, s2
	v_sub_co_u32 v13, s2, v2, s28
	v_sub_co_ci_u32_e32 v3, vcc_lo, v7, v3, vcc_lo
	s_wait_alu 0xf1ff
	v_subrev_co_ci_u32_e64 v10, s2, 0, v10, s2
	s_delay_alu instid0(VALU_DEP_3) | instskip(NEXT) | instid1(VALU_DEP_3)
	v_cmp_le_u32_e32 vcc_lo, s28, v13
	v_cmp_eq_u32_e64 s2, s29, v3
	s_wait_alu 0xfffd
	v_cndmask_b32_e64 v13, 0, -1, vcc_lo
	v_cmp_le_u32_e32 vcc_lo, s29, v10
	s_wait_alu 0xfffd
	v_cndmask_b32_e64 v14, 0, -1, vcc_lo
	v_cmp_le_u32_e32 vcc_lo, s28, v2
	;; [unrolled: 3-line block ×3, first 2 shown]
	s_wait_alu 0xfffd
	v_cndmask_b32_e64 v15, 0, -1, vcc_lo
	v_cmp_eq_u32_e32 vcc_lo, s29, v10
	s_wait_alu 0xf1ff
	s_delay_alu instid0(VALU_DEP_2)
	v_cndmask_b32_e64 v2, v15, v2, s2
	s_wait_alu 0xfffd
	v_cndmask_b32_e32 v10, v14, v13, vcc_lo
	v_add_co_u32 v13, vcc_lo, v8, 1
	s_wait_alu 0xfffd
	v_add_co_ci_u32_e32 v14, vcc_lo, 0, v9, vcc_lo
	s_delay_alu instid0(VALU_DEP_3) | instskip(SKIP_1) | instid1(VALU_DEP_2)
	v_cmp_ne_u32_e32 vcc_lo, 0, v10
	s_wait_alu 0xfffd
	v_dual_cndmask_b32 v3, v14, v12 :: v_dual_cndmask_b32 v10, v13, v11
	v_cmp_ne_u32_e32 vcc_lo, 0, v2
	s_wait_alu 0xfffd
	s_delay_alu instid0(VALU_DEP_2)
	v_dual_cndmask_b32 v115, v9, v3 :: v_dual_cndmask_b32 v114, v8, v10
.LBB0_4:                                ;   in Loop: Header=BB0_2 Depth=1
	s_wait_alu 0xfffe
	s_and_not1_saveexec_b32 s2, s30
	s_cbranch_execz .LBB0_6
; %bb.5:                                ;   in Loop: Header=BB0_2 Depth=1
	v_cvt_f32_u32_e32 v2, s28
	s_sub_co_i32 s30, 0, s28
	v_mov_b32_e32 v115, v1
	s_delay_alu instid0(VALU_DEP_2) | instskip(NEXT) | instid1(TRANS32_DEP_1)
	v_rcp_iflag_f32_e32 v2, v2
	v_mul_f32_e32 v2, 0x4f7ffffe, v2
	s_delay_alu instid0(VALU_DEP_1) | instskip(SKIP_1) | instid1(VALU_DEP_1)
	v_cvt_u32_f32_e32 v2, v2
	s_wait_alu 0xfffe
	v_mul_lo_u32 v3, s30, v2
	s_delay_alu instid0(VALU_DEP_1) | instskip(NEXT) | instid1(VALU_DEP_1)
	v_mul_hi_u32 v3, v2, v3
	v_add_nc_u32_e32 v2, v2, v3
	s_delay_alu instid0(VALU_DEP_1) | instskip(NEXT) | instid1(VALU_DEP_1)
	v_mul_hi_u32 v2, v6, v2
	v_mul_lo_u32 v3, v2, s28
	v_add_nc_u32_e32 v8, 1, v2
	s_delay_alu instid0(VALU_DEP_2) | instskip(NEXT) | instid1(VALU_DEP_1)
	v_sub_nc_u32_e32 v3, v6, v3
	v_subrev_nc_u32_e32 v9, s28, v3
	v_cmp_le_u32_e32 vcc_lo, s28, v3
	s_wait_alu 0xfffd
	s_delay_alu instid0(VALU_DEP_2) | instskip(NEXT) | instid1(VALU_DEP_1)
	v_dual_cndmask_b32 v3, v3, v9 :: v_dual_cndmask_b32 v2, v2, v8
	v_cmp_le_u32_e32 vcc_lo, s28, v3
	s_delay_alu instid0(VALU_DEP_2) | instskip(SKIP_1) | instid1(VALU_DEP_1)
	v_add_nc_u32_e32 v8, 1, v2
	s_wait_alu 0xfffd
	v_cndmask_b32_e32 v114, v2, v8, vcc_lo
.LBB0_6:                                ;   in Loop: Header=BB0_2 Depth=1
	s_wait_alu 0xfffe
	s_or_b32 exec_lo, exec_lo, s2
	v_mul_lo_u32 v8, v115, s28
	s_delay_alu instid0(VALU_DEP_2)
	v_mul_lo_u32 v9, v114, s29
	s_load_b64 s[30:31], s[22:23], 0x0
	v_mad_co_u64_u32 v[2:3], null, v114, s28, 0
	s_load_b64 s[28:29], s[20:21], 0x0
	s_add_nc_u64 s[24:25], s[24:25], 1
	s_add_nc_u64 s[20:21], s[20:21], 8
	s_wait_alu 0xfffe
	v_cmp_ge_u64_e64 s2, s[24:25], s[6:7]
	s_add_nc_u64 s[22:23], s[22:23], 8
	s_add_nc_u64 s[26:27], s[26:27], 8
	v_add3_u32 v3, v3, v9, v8
	v_sub_co_u32 v2, vcc_lo, v6, v2
	s_wait_alu 0xfffd
	s_delay_alu instid0(VALU_DEP_2) | instskip(SKIP_2) | instid1(VALU_DEP_1)
	v_sub_co_ci_u32_e32 v3, vcc_lo, v7, v3, vcc_lo
	s_and_b32 vcc_lo, exec_lo, s2
	s_wait_kmcnt 0x0
	v_mul_lo_u32 v6, s30, v3
	v_mul_lo_u32 v7, s31, v2
	v_mad_co_u64_u32 v[4:5], null, s30, v2, v[4:5]
	v_mul_lo_u32 v3, s28, v3
	v_mul_lo_u32 v8, s29, v2
	v_mad_co_u64_u32 v[112:113], null, s28, v2, v[112:113]
	s_delay_alu instid0(VALU_DEP_4) | instskip(NEXT) | instid1(VALU_DEP_2)
	v_add3_u32 v5, v7, v5, v6
	v_add3_u32 v113, v8, v113, v3
	s_wait_alu 0xfffe
	s_cbranch_vccnz .LBB0_9
; %bb.7:                                ;   in Loop: Header=BB0_2 Depth=1
	v_dual_mov_b32 v6, v114 :: v_dual_mov_b32 v7, v115
	s_branch .LBB0_2
.LBB0_8:
	v_dual_mov_b32 v113, v5 :: v_dual_mov_b32 v112, v4
	s_delay_alu instid0(VALU_DEP_2)
	v_dual_mov_b32 v115, v7 :: v_dual_mov_b32 v114, v6
.LBB0_9:
	s_load_b64 s[0:1], s[0:1], 0x28
	v_mul_hi_u32 v1, 0x4104105, v0
	s_lshl_b64 s[6:7], s[6:7], 3
                                        ; implicit-def: $vgpr164
                                        ; implicit-def: $vgpr132
                                        ; implicit-def: $vgpr133
                                        ; implicit-def: $vgpr165
                                        ; implicit-def: $vgpr129
                                        ; implicit-def: $vgpr130
                                        ; implicit-def: $vgpr131
                                        ; implicit-def: $vgpr128
                                        ; implicit-def: $vgpr99
                                        ; implicit-def: $vgpr96
                                        ; implicit-def: $vgpr97
                                        ; implicit-def: $vgpr98
	s_wait_kmcnt 0x0
	v_cmp_gt_u64_e32 vcc_lo, s[0:1], v[114:115]
	v_cmp_le_u64_e64 s0, s[0:1], v[114:115]
	s_delay_alu instid0(VALU_DEP_1)
	s_and_saveexec_b32 s1, s0
	s_wait_alu 0xfffe
	s_xor_b32 s0, exec_lo, s1
	s_cbranch_execz .LBB0_11
; %bb.10:
	v_mul_u32_u24_e32 v1, 63, v1
                                        ; implicit-def: $vgpr4_vgpr5
	s_delay_alu instid0(VALU_DEP_1) | instskip(NEXT) | instid1(VALU_DEP_1)
	v_sub_nc_u32_e32 v164, v0, v1
                                        ; implicit-def: $vgpr1
                                        ; implicit-def: $vgpr0
	v_add_nc_u32_e32 v132, 63, v164
	v_add_nc_u32_e32 v133, 0x7e, v164
	v_add_nc_u32_e32 v165, 0xbd, v164
	v_add_nc_u32_e32 v129, 0xfc, v164
	v_add_nc_u32_e32 v130, 0x13b, v164
	v_add_nc_u32_e32 v131, 0x17a, v164
	v_add_nc_u32_e32 v128, 0x1b9, v164
	v_add_nc_u32_e32 v99, 0x1f8, v164
	v_add_nc_u32_e32 v96, 0x237, v164
	v_add_nc_u32_e32 v97, 0x276, v164
	v_add_nc_u32_e32 v98, 0x2b5, v164
.LBB0_11:
	s_wait_alu 0xfffe
	s_or_saveexec_b32 s1, s0
	s_add_nc_u64 s[2:3], s[14:15], s[6:7]
                                        ; implicit-def: $vgpr78_vgpr79
                                        ; implicit-def: $vgpr46_vgpr47
                                        ; implicit-def: $vgpr74_vgpr75
                                        ; implicit-def: $vgpr50_vgpr51
                                        ; implicit-def: $vgpr82_vgpr83
                                        ; implicit-def: $vgpr54_vgpr55
                                        ; implicit-def: $vgpr86_vgpr87
                                        ; implicit-def: $vgpr58_vgpr59
                                        ; implicit-def: $vgpr90_vgpr91
                                        ; implicit-def: $vgpr62_vgpr63
                                        ; implicit-def: $vgpr94_vgpr95
                                        ; implicit-def: $vgpr66_vgpr67
                                        ; implicit-def: $vgpr70_vgpr71
                                        ; implicit-def: $vgpr42_vgpr43
                                        ; implicit-def: $vgpr34_vgpr35
                                        ; implicit-def: $vgpr22_vgpr23
                                        ; implicit-def: $vgpr38_vgpr39
                                        ; implicit-def: $vgpr26_vgpr27
                                        ; implicit-def: $vgpr14_vgpr15
                                        ; implicit-def: $vgpr10_vgpr11
                                        ; implicit-def: $vgpr18_vgpr19
                                        ; implicit-def: $vgpr6_vgpr7
                                        ; implicit-def: $vgpr30_vgpr31
                                        ; implicit-def: $vgpr2_vgpr3
	s_wait_alu 0xfffe
	s_xor_b32 exec_lo, exec_lo, s1
	s_cbranch_execz .LBB0_13
; %bb.12:
	s_add_nc_u64 s[6:7], s[12:13], s[6:7]
	v_mul_u32_u24_e32 v1, 63, v1
	s_load_b64 s[6:7], s[6:7], 0x0
	v_lshlrev_b64_e32 v[4:5], 4, v[4:5]
	s_delay_alu instid0(VALU_DEP_2) | instskip(NEXT) | instid1(VALU_DEP_1)
	v_sub_nc_u32_e32 v164, v0, v1
	v_mad_co_u64_u32 v[0:1], null, s18, v164, 0
	v_add_nc_u32_e32 v15, 0x333, v164
	v_add_nc_u32_e32 v130, 0x13b, v164
	;; [unrolled: 1-line block ×6, first 2 shown]
	v_mad_co_u64_u32 v[40:41], null, s18, v130, 0
	v_add_nc_u32_e32 v165, 0xbd, v164
	s_wait_kmcnt 0x0
	v_mad_co_u64_u32 v[2:3], null, s6, v114, 0
	v_mul_lo_u32 v12, s7, v114
	v_mul_lo_u32 v14, s6, v115
	v_mad_co_u64_u32 v[20:21], null, s18, v165, 0
	v_add_nc_u32_e32 v17, 0x372, v164
	v_mad_co_u64_u32 v[42:43], null, s18, v35, 0
	v_mad_co_u64_u32 v[10:11], null, s19, v164, v[1:2]
	v_add_nc_u32_e32 v132, 63, v164
	v_add3_u32 v3, v3, v14, v12
	v_mad_co_u64_u32 v[11:12], null, s18, v15, 0
	v_add_nc_u32_e32 v13, 0x2f4, v164
	v_mad_co_u64_u32 v[48:49], null, s18, v131, 0
	v_mov_b32_e32 v1, v10
	v_mad_co_u64_u32 v[8:9], null, s18, v132, 0
	s_delay_alu instid0(VALU_DEP_4) | instskip(SKIP_1) | instid1(VALU_DEP_4)
	v_mad_co_u64_u32 v[6:7], null, s18, v13, 0
	v_lshlrev_b64_e32 v[2:3], 4, v[2:3]
	v_lshlrev_b64_e32 v[0:1], 4, v[0:1]
	v_add_nc_u32_e32 v97, 0x276, v164
	v_add_nc_u32_e32 v67, 0x5a9, v164
	v_mad_co_u64_u32 v[9:10], null, s19, v132, v[9:10]
	v_mad_co_u64_u32 v[13:14], null, s19, v13, v[7:8]
	v_add_co_u32 v2, s0, s8, v2
	s_wait_alu 0xf1ff
	v_add_co_ci_u32_e64 v3, s0, s9, v3, s0
	v_mad_co_u64_u32 v[64:65], null, s18, v67, 0
	s_delay_alu instid0(VALU_DEP_4) | instskip(SKIP_3) | instid1(VALU_DEP_3)
	v_mov_b32_e32 v7, v13
	v_add_co_u32 v44, s0, v2, v4
	s_wait_alu 0xf1ff
	v_add_co_ci_u32_e64 v45, s0, v3, v5, s0
	v_lshlrev_b64_e32 v[2:3], 4, v[6:7]
	s_delay_alu instid0(VALU_DEP_3) | instskip(SKIP_1) | instid1(VALU_DEP_3)
	v_add_co_u32 v0, s0, v44, v0
	s_wait_alu 0xf1ff
	v_add_co_ci_u32_e64 v1, s0, v45, v1, s0
	v_mad_co_u64_u32 v[13:14], null, s18, v17, 0
	s_delay_alu instid0(VALU_DEP_4)
	v_add_co_u32 v4, s0, v44, v2
	v_mov_b32_e32 v2, v12
	s_wait_alu 0xf1ff
	v_add_co_ci_u32_e64 v5, s0, v45, v3, s0
	v_add_nc_u32_e32 v34, 0x3f0, v164
	v_add_nc_u32_e32 v54, 0x46e, v164
	v_mad_co_u64_u32 v[15:16], null, s19, v15, v[2:3]
	s_clause 0x1
	global_load_b128 v[0:3], v[0:1], off
	global_load_b128 v[28:31], v[4:5], off
	v_add_nc_u32_e32 v133, 0x7e, v164
	v_mov_b32_e32 v5, v14
	v_mad_co_u64_u32 v[26:27], null, s18, v34, 0
	v_add_nc_u32_e32 v128, 0x1b9, v164
	v_mov_b32_e32 v12, v15
	v_mad_co_u64_u32 v[6:7], null, s18, v133, 0
	v_add_nc_u32_e32 v58, 0x4ad, v164
	s_delay_alu instid0(VALU_DEP_4)
	v_mad_co_u64_u32 v[52:53], null, s18, v128, 0
	v_add_nc_u32_e32 v62, 0x4ec, v164
	v_add_nc_u32_e32 v96, 0x237, v164
	;; [unrolled: 1-line block ×3, first 2 shown]
	v_mov_b32_e32 v4, v7
	v_lshlrev_b64_e32 v[7:8], 4, v[8:9]
	v_add_nc_u32_e32 v98, 0x2b5, v164
	s_delay_alu instid0(VALU_DEP_3) | instskip(SKIP_1) | instid1(VALU_DEP_4)
	v_mad_co_u64_u32 v[9:10], null, s19, v133, v[4:5]
	v_lshlrev_b64_e32 v[10:11], 4, v[11:12]
	v_add_co_u32 v15, s0, v44, v7
	s_wait_alu 0xf1ff
	v_add_co_ci_u32_e64 v16, s0, v45, v8, s0
	s_delay_alu instid0(VALU_DEP_3)
	v_add_co_u32 v8, s0, v44, v10
	v_mov_b32_e32 v10, v21
	v_mad_co_u64_u32 v[4:5], null, s19, v17, v[5:6]
	v_mov_b32_e32 v7, v9
	v_add_nc_u32_e32 v17, 0x3b1, v164
	s_wait_alu 0xf1ff
	v_add_co_ci_u32_e64 v9, s0, v45, v11, s0
	s_delay_alu instid0(VALU_DEP_4) | instskip(SKIP_2) | instid1(VALU_DEP_3)
	v_mov_b32_e32 v14, v4
	v_lshlrev_b64_e32 v[4:5], 4, v[6:7]
	v_mad_co_u64_u32 v[22:23], null, s18, v17, 0
	v_lshlrev_b64_e32 v[6:7], 4, v[13:14]
	s_delay_alu instid0(VALU_DEP_3) | instskip(SKIP_1) | instid1(VALU_DEP_4)
	v_add_co_u32 v11, s0, v44, v4
	s_wait_alu 0xf1ff
	v_add_co_ci_u32_e64 v12, s0, v45, v5, s0
	s_delay_alu instid0(VALU_DEP_3) | instskip(NEXT) | instid1(VALU_DEP_3)
	v_add_co_u32 v13, s0, v44, v6
	v_mad_co_u64_u32 v[4:5], null, s19, v165, v[10:11]
	v_mov_b32_e32 v5, v23
	s_wait_alu 0xf1ff
	v_add_co_ci_u32_e64 v14, s0, v45, v7, s0
	s_delay_alu instid0(VALU_DEP_2)
	v_mad_co_u64_u32 v[23:24], null, s19, v17, v[5:6]
	v_mad_co_u64_u32 v[24:25], null, s18, v129, 0
	v_mov_b32_e32 v21, v4
	s_clause 0x3
	global_load_b128 v[4:7], v[15:16], off
	global_load_b128 v[16:19], v[8:9], off
	;; [unrolled: 1-line block ×4, first 2 shown]
	v_lshlrev_b64_e32 v[22:23], 4, v[22:23]
	v_lshlrev_b64_e32 v[20:21], 4, v[20:21]
	v_mad_co_u64_u32 v[32:33], null, s19, v129, v[25:26]
	s_delay_alu instid0(VALU_DEP_2) | instskip(SKIP_1) | instid1(VALU_DEP_3)
	v_add_co_u32 v20, s0, v44, v20
	s_wait_alu 0xf1ff
	v_add_co_ci_u32_e64 v21, s0, v45, v21, s0
	s_delay_alu instid0(VALU_DEP_3) | instskip(SKIP_3) | instid1(VALU_DEP_3)
	v_dual_mov_b32 v25, v32 :: v_dual_mov_b32 v32, v41
	v_add_co_u32 v22, s0, v44, v22
	s_wait_alu 0xf1ff
	v_add_co_ci_u32_e64 v23, s0, v45, v23, s0
	v_lshlrev_b64_e32 v[24:25], 4, v[24:25]
	s_wait_loadcnt 0x4
	v_mad_co_u64_u32 v[33:34], null, s19, v34, v[27:28]
	s_delay_alu instid0(VALU_DEP_1) | instskip(SKIP_1) | instid1(VALU_DEP_4)
	v_mov_b32_e32 v27, v33
	v_mad_co_u64_u32 v[32:33], null, s19, v130, v[32:33]
	v_add_co_u32 v33, s0, v44, v24
	s_delay_alu instid0(VALU_DEP_3) | instskip(SKIP_4) | instid1(VALU_DEP_3)
	v_lshlrev_b64_e32 v[26:27], 4, v[26:27]
	v_mov_b32_e32 v24, v43
	s_wait_alu 0xf1ff
	v_add_co_ci_u32_e64 v34, s0, v45, v25, s0
	v_mov_b32_e32 v41, v32
	v_mad_co_u64_u32 v[50:51], null, s19, v35, v[24:25]
	v_add_co_u32 v46, s0, v44, v26
	s_wait_alu 0xf1ff
	v_add_co_ci_u32_e64 v47, s0, v45, v27, s0
	s_clause 0x3
	global_load_b128 v[24:27], v[20:21], off
	global_load_b128 v[36:39], v[22:23], off
	;; [unrolled: 1-line block ×4, first 2 shown]
	v_dual_mov_b32 v46, v49 :: v_dual_mov_b32 v43, v50
	v_mad_co_u64_u32 v[50:51], null, s18, v54, 0
	v_lshlrev_b64_e32 v[40:41], 4, v[40:41]
	s_delay_alu instid0(VALU_DEP_3) | instskip(NEXT) | instid1(VALU_DEP_4)
	v_mad_co_u64_u32 v[46:47], null, s19, v131, v[46:47]
	v_lshlrev_b64_e32 v[42:43], 4, v[42:43]
	s_delay_alu instid0(VALU_DEP_4) | instskip(NEXT) | instid1(VALU_DEP_4)
	v_mov_b32_e32 v47, v51
	v_add_co_u32 v40, s0, v44, v40
	s_delay_alu instid0(VALU_DEP_4)
	v_mov_b32_e32 v49, v46
	s_wait_alu 0xf1ff
	v_add_co_ci_u32_e64 v41, s0, v45, v41, s0
	v_mad_co_u64_u32 v[46:47], null, s19, v54, v[47:48]
	v_add_co_u32 v54, s0, v44, v42
	s_wait_alu 0xf1ff
	v_add_co_ci_u32_e64 v55, s0, v45, v43, s0
	v_lshlrev_b64_e32 v[42:43], 4, v[48:49]
	v_mad_co_u64_u32 v[48:49], null, s18, v58, 0
	v_mov_b32_e32 v47, v53
	v_mov_b32_e32 v51, v46
	s_delay_alu instid0(VALU_DEP_4)
	v_add_co_u32 v56, s0, v44, v42
	s_wait_alu 0xf1ff
	v_add_co_ci_u32_e64 v57, s0, v45, v43, s0
	v_mad_co_u64_u32 v[46:47], null, s19, v128, v[47:48]
	v_mov_b32_e32 v47, v49
	v_lshlrev_b64_e32 v[42:43], 4, v[50:51]
	v_mad_co_u64_u32 v[50:51], null, s18, v99, 0
	s_delay_alu instid0(VALU_DEP_4) | instskip(NEXT) | instid1(VALU_DEP_4)
	v_mov_b32_e32 v53, v46
	v_mad_co_u64_u32 v[46:47], null, s19, v58, v[47:48]
	s_delay_alu instid0(VALU_DEP_4)
	v_add_co_u32 v58, s0, v44, v42
	s_wait_alu 0xf1ff
	v_add_co_ci_u32_e64 v59, s0, v45, v43, s0
	v_lshlrev_b64_e32 v[42:43], 4, v[52:53]
	v_mov_b32_e32 v47, v51
	v_mov_b32_e32 v49, v46
	v_mad_co_u64_u32 v[52:53], null, s18, v62, 0
	s_delay_alu instid0(VALU_DEP_4) | instskip(NEXT) | instid1(VALU_DEP_4)
	v_add_co_u32 v60, s0, v44, v42
	v_mad_co_u64_u32 v[46:47], null, s19, v99, v[47:48]
	s_wait_alu 0xf1ff
	v_add_co_ci_u32_e64 v61, s0, v45, v43, s0
	v_lshlrev_b64_e32 v[42:43], 4, v[48:49]
	v_mad_co_u64_u32 v[48:49], null, s18, v96, 0
	v_mov_b32_e32 v47, v53
	v_mov_b32_e32 v51, v46
	s_delay_alu instid0(VALU_DEP_4)
	v_add_co_u32 v72, s0, v44, v42
	s_wait_alu 0xf1ff
	v_add_co_ci_u32_e64 v73, s0, v45, v43, s0
	v_mad_co_u64_u32 v[46:47], null, s19, v62, v[47:48]
	v_dual_mov_b32 v47, v49 :: v_dual_add_nc_u32 v62, 0x52b, v164
	v_lshlrev_b64_e32 v[42:43], 4, v[50:51]
	s_delay_alu instid0(VALU_DEP_2) | instskip(NEXT) | instid1(VALU_DEP_4)
	v_mad_co_u64_u32 v[50:51], null, s18, v62, 0
	v_mov_b32_e32 v53, v46
	s_delay_alu instid0(VALU_DEP_4) | instskip(NEXT) | instid1(VALU_DEP_4)
	v_mad_co_u64_u32 v[46:47], null, s19, v96, v[47:48]
	v_add_co_u32 v74, s0, v44, v42
	s_wait_alu 0xf1ff
	v_add_co_ci_u32_e64 v75, s0, v45, v43, s0
	v_mov_b32_e32 v47, v51
	v_lshlrev_b64_e32 v[42:43], 4, v[52:53]
	v_mad_co_u64_u32 v[52:53], null, s18, v97, 0
	v_mov_b32_e32 v49, v46
	s_delay_alu instid0(VALU_DEP_4) | instskip(NEXT) | instid1(VALU_DEP_4)
	v_mad_co_u64_u32 v[46:47], null, s19, v62, v[47:48]
	v_add_co_u32 v76, s0, v44, v42
	s_delay_alu instid0(VALU_DEP_3)
	v_lshlrev_b64_e32 v[47:48], 4, v[48:49]
	v_mov_b32_e32 v42, v53
	v_mad_co_u64_u32 v[62:63], null, s18, v66, 0
	s_wait_alu 0xf1ff
	v_add_co_ci_u32_e64 v77, s0, v45, v43, s0
	v_mov_b32_e32 v51, v46
	v_add_co_u32 v46, s0, v44, v47
	v_mad_co_u64_u32 v[42:43], null, s19, v97, v[42:43]
	s_wait_alu 0xf1ff
	v_add_co_ci_u32_e64 v47, s0, v45, v48, s0
	v_mad_co_u64_u32 v[48:49], null, s18, v98, 0
	v_mov_b32_e32 v43, v63
	v_lshlrev_b64_e32 v[50:51], 4, v[50:51]
	v_mov_b32_e32 v53, v42
	s_delay_alu instid0(VALU_DEP_3) | instskip(SKIP_1) | instid1(VALU_DEP_4)
	v_mad_co_u64_u32 v[42:43], null, s19, v66, v[43:44]
	v_mov_b32_e32 v43, v49
	v_add_co_u32 v50, s0, v44, v50
	v_mov_b32_e32 v49, v65
	v_lshlrev_b64_e32 v[52:53], 4, v[52:53]
	s_delay_alu instid0(VALU_DEP_4) | instskip(SKIP_1) | instid1(VALU_DEP_4)
	v_mad_co_u64_u32 v[65:66], null, s19, v98, v[43:44]
	v_mov_b32_e32 v63, v42
	v_mad_co_u64_u32 v[66:67], null, s19, v67, v[49:50]
	s_clause 0x1
	global_load_b128 v[40:43], v[40:41], off
	global_load_b128 v[68:71], v[54:55], off
	s_wait_alu 0xf1ff
	v_add_co_ci_u32_e64 v51, s0, v45, v51, s0
	v_mov_b32_e32 v49, v65
	v_lshlrev_b64_e32 v[54:55], 4, v[62:63]
	v_add_co_u32 v78, s0, v44, v52
	v_mov_b32_e32 v65, v66
	s_delay_alu instid0(VALU_DEP_4)
	v_lshlrev_b64_e32 v[48:49], 4, v[48:49]
	s_wait_alu 0xf1ff
	v_add_co_ci_u32_e64 v79, s0, v45, v53, s0
	v_add_co_u32 v100, s0, v44, v54
	v_lshlrev_b64_e32 v[52:53], 4, v[64:65]
	s_wait_alu 0xf1ff
	v_add_co_ci_u32_e64 v101, s0, v45, v55, s0
	v_add_co_u32 v102, s0, v44, v48
	s_wait_alu 0xf1ff
	v_add_co_ci_u32_e64 v103, s0, v45, v49, s0
	v_add_co_u32 v104, s0, v44, v52
	s_wait_alu 0xf1ff
	v_add_co_ci_u32_e64 v105, s0, v45, v53, s0
	s_clause 0xb
	global_load_b128 v[64:67], v[56:57], off
	global_load_b128 v[92:95], v[58:59], off
	;; [unrolled: 1-line block ×12, first 2 shown]
.LBB0_13:
	s_or_b32 exec_lo, exec_lo, s1
	s_wait_loadcnt 0xc
	v_add_f64_e64 v[122:123], v[40:41], -v[68:69]
	v_add_f64_e64 v[102:103], v[0:1], -v[28:29]
	;; [unrolled: 1-line block ×4, first 2 shown]
	s_wait_loadcnt 0x4
	v_add_f64_e64 v[152:153], v[52:53], -v[80:81]
	v_add_f64_e64 v[118:119], v[24:25], -v[36:37]
	s_wait_loadcnt 0x2
	v_add_f64_e64 v[156:157], v[48:49], -v[72:73]
	s_wait_loadcnt 0x0
	v_add_f64_e64 v[160:161], v[44:45], -v[76:77]
	v_add_f64_e64 v[32:33], v[20:21], -v[32:33]
	v_add_f64_e64 v[126:127], v[64:65], -v[92:93]
	v_add_f64_e64 v[144:145], v[60:61], -v[88:89]
	v_add_f64_e64 v[148:149], v[56:57], -v[84:85]
	v_add_f64_e64 v[36:37], v[2:3], -v[30:31]
	v_add_f64_e64 v[162:163], v[10:11], -v[14:15]
	v_add_f64_e64 v[28:29], v[26:27], -v[38:39]
	v_add_f64_e64 v[168:169], v[22:23], -v[34:35]
	v_add_f64_e64 v[94:95], v[66:67], -v[94:95]
	v_add_f64_e64 v[172:173], v[62:63], -v[90:91]
	v_lshl_add_u32 v174, v164, 4, 0
	v_lshl_add_u32 v175, v132, 4, 0
	;; [unrolled: 1-line block ×12, first 2 shown]
	s_load_b64 s[2:3], s[2:3], 0x0
	v_lshlrev_b32_e32 v138, 3, v165
	v_lshlrev_b32_e32 v12, 3, v129
	;; [unrolled: 1-line block ×3, first 2 shown]
	v_lshl_add_u32 v134, v164, 3, 0
	v_and_b32_e32 v200, 0xff, v132
	v_and_b32_e32 v201, 0xff, v164
	v_sub_nc_u32_e32 v139, v177, v12
	v_fma_f64 v[120:121], v[40:41], 2.0, -v[122:123]
	v_add_f64_e64 v[40:41], v[6:7], -v[18:19]
	v_fma_f64 v[100:101], v[0:1], 2.0, -v[102:103]
	v_fma_f64 v[104:105], v[4:5], 2.0, -v[106:107]
	v_fma_f64 v[108:109], v[8:9], 2.0, -v[110:111]
	v_fma_f64 v[150:151], v[52:53], 2.0, -v[152:153]
	v_add_f64_e64 v[52:53], v[50:51], -v[74:75]
	v_fma_f64 v[116:117], v[24:25], 2.0, -v[118:119]
	v_fma_f64 v[154:155], v[48:49], 2.0, -v[156:157]
	;; [unrolled: 1-line block ×3, first 2 shown]
	v_add_f64_e64 v[44:45], v[42:43], -v[70:71]
	v_add_f64_e64 v[48:49], v[46:47], -v[78:79]
	v_fma_f64 v[30:31], v[20:21], 2.0, -v[32:33]
	v_fma_f64 v[124:125], v[64:65], 2.0, -v[126:127]
	;; [unrolled: 1-line block ×3, first 2 shown]
	v_add_f64_e64 v[60:61], v[58:59], -v[86:87]
	v_fma_f64 v[146:147], v[56:57], 2.0, -v[148:149]
	v_add_f64_e64 v[56:57], v[54:55], -v[82:83]
	v_fma_f64 v[34:35], v[2:3], 2.0, -v[36:37]
	v_fma_f64 v[26:27], v[26:27], 2.0, -v[28:29]
	;; [unrolled: 1-line block ×5, first 2 shown]
	v_lshlrev_b32_e32 v0, 3, v130
	v_lshlrev_b32_e32 v1, 3, v131
	;; [unrolled: 1-line block ×6, first 2 shown]
	v_sub_nc_u32_e32 v140, v178, v0
	v_sub_nc_u32_e32 v141, v179, v1
	;; [unrolled: 1-line block ×7, first 2 shown]
	v_add_nc_u32_e32 v91, 0x2400, v134
	v_lshlrev_b32_e32 v99, 1, v99
	ds_store_b128 v174, v[100:103]
	ds_store_b128 v175, v[104:107]
	ds_store_b128 v176, v[108:111]
	ds_store_b128 v135, v[116:119]
	ds_store_b128 v177, v[30:33]
	ds_store_b128 v178, v[120:123]
	ds_store_b128 v179, v[124:127]
	ds_store_b128 v180, v[142:145]
	ds_store_b128 v181, v[146:149]
	ds_store_b128 v182, v[150:153]
	ds_store_b128 v183, v[154:157]
	ds_store_b128 v184, v[158:161]
	v_fma_f64 v[38:39], v[6:7], 2.0, -v[40:41]
	v_fma_f64 v[160:161], v[10:11], 2.0, -v[162:163]
	;; [unrolled: 1-line block ×5, first 2 shown]
	v_and_b32_e32 v109, 1, v164
	v_fma_f64 v[58:59], v[58:59], 2.0, -v[60:61]
	v_and_b32_e32 v111, 1, v132
	v_fma_f64 v[54:55], v[54:55], 2.0, -v[56:57]
	v_lshl_add_u32 v144, v132, 3, 0
	v_and_b32_e32 v120, 1, v165
	v_lshl_add_u32 v145, v133, 3, 0
	v_sub_nc_u32_e32 v142, v135, v138
	v_and_b32_e32 v118, 1, v130
	v_lshlrev_b32_e32 v24, 4, v109
	global_wb scope:SCOPE_SE
	s_wait_dscnt 0x0
	s_wait_kmcnt 0x0
	s_barrier_signal -1
	s_barrier_wait -1
	global_inv scope:SCOPE_SE
	v_add_nc_u32_e32 v146, 0x1400, v134
	v_add_nc_u32_e32 v147, 0x1800, v134
	;; [unrolled: 1-line block ×5, first 2 shown]
	ds_load_b64 v[64:65], v134
	ds_load_b64 v[66:67], v144
	;; [unrolled: 1-line block ×12, first 2 shown]
	ds_load_2addr_b64 v[20:23], v146 offset0:116 offset1:179
	ds_load_2addr_b64 v[16:19], v147 offset0:114 offset1:177
	;; [unrolled: 1-line block ×6, first 2 shown]
	global_wb scope:SCOPE_SE
	s_wait_dscnt 0x0
	s_barrier_signal -1
	s_barrier_wait -1
	global_inv scope:SCOPE_SE
	ds_store_b128 v174, v[34:37]
	ds_store_b128 v175, v[38:41]
	;; [unrolled: 1-line block ×10, first 2 shown]
	v_lshlrev_b32_e32 v28, 4, v111
	v_lshlrev_b32_e32 v32, 4, v120
	v_and_b32_e32 v121, 1, v128
	v_and_b32_e32 v123, 1, v96
	v_lshlrev_b32_e32 v33, 4, v118
	ds_store_b128 v183, v[50:53]
	ds_store_b128 v184, v[46:49]
	global_wb scope:SCOPE_SE
	s_wait_dscnt 0x0
	s_barrier_signal -1
	s_barrier_wait -1
	global_inv scope:SCOPE_SE
	s_clause 0x1
	global_load_b128 v[24:27], v24, s[4:5]
	global_load_b128 v[28:31], v28, s[4:5]
	v_and_b32_e32 v143, 1, v98
	s_clause 0x1
	global_load_b128 v[40:43], v32, s[4:5]
	global_load_b128 v[44:47], v33, s[4:5]
	v_lshlrev_b32_e32 v34, 4, v121
	v_lshlrev_b32_e32 v32, 4, v123
	;; [unrolled: 1-line block ×3, first 2 shown]
	s_clause 0x2
	global_load_b128 v[48:51], v34, s[4:5]
	global_load_b128 v[36:39], v32, s[4:5]
	;; [unrolled: 1-line block ×3, first 2 shown]
	ds_load_2addr_b64 v[60:63], v146 offset0:116 offset1:179
	ds_load_2addr_b64 v[56:59], v147 offset0:114 offset1:177
	;; [unrolled: 1-line block ×6, first 2 shown]
	v_lshlrev_b32_e32 v105, 1, v165
	v_lshlrev_b32_e32 v94, 1, v128
	;; [unrolled: 1-line block ×5, first 2 shown]
	v_and_or_b32 v197, 0x1fc, v105, v120
	v_lshlrev_b32_e32 v101, 1, v133
	v_and_or_b32 v123, 0x4fc, v102, v123
	v_lshlrev_b32_e32 v106, 1, v129
	v_lshlrev_b32_e32 v92, 1, v130
	;; [unrolled: 1-line block ×5, first 2 shown]
	v_and_b32_e32 v122, 3, v132
	v_and_or_b32 v163, 0x7c, v100, v109
	v_and_b32_e32 v117, 3, v164
	v_and_or_b32 v111, 0xfc, v95, v111
	;; [unrolled: 2-line block ×3, first 2 shown]
	v_and_b32_e32 v110, 3, v165
	v_and_b32_e32 v108, 3, v131
	;; [unrolled: 1-line block ×3, first 2 shown]
	v_and_or_b32 v118, 0x2fc, v92, v118
	v_and_or_b32 v143, 0x5fc, v104, v143
	v_lshl_add_u32 v111, v111, 3, 0
	v_and_b32_e32 v116, 3, v128
	v_and_b32_e32 v96, 3, v96
	v_lshl_add_u32 v118, v118, 3, 0
	v_lshl_add_u32 v143, v143, 3, 0
	v_and_b32_e32 v97, 3, v97
	v_and_b32_e32 v98, 3, v98
	v_and_or_b32 v95, 0xf8, v95, v122
	v_and_or_b32 v101, 0x1f8, v101, v107
	v_mul_lo_u16 v207, 0xab, v200
	v_mul_lo_u16 v208, 0xab, v201
	s_mov_b32 s6, 0xe8584caa
	s_mov_b32 s7, 0x3febb67a
	;; [unrolled: 1-line block ×3, first 2 shown]
	s_wait_alu 0xfffe
	s_mov_b32 s8, s6
	v_cmp_gt_u32_e64 s0, 9, v164
	s_wait_loadcnt_dscnt 0x605
	v_mul_f64_e32 v[150:151], v[60:61], v[26:27]
	s_wait_loadcnt 0x5
	v_mul_f64_e32 v[161:162], v[62:63], v[30:31]
	v_mul_f64_e32 v[30:31], v[22:23], v[30:31]
	v_mul_f64_e32 v[186:187], v[20:21], v[26:27]
	s_wait_dscnt 0x4
	v_mul_f64_e32 v[166:167], v[56:57], v[26:27]
	s_wait_loadcnt 0x4
	v_mul_f64_e32 v[168:169], v[58:59], v[42:43]
	v_mul_f64_e32 v[42:43], v[18:19], v[42:43]
	v_mul_f64_e32 v[188:189], v[16:17], v[26:27]
	s_wait_dscnt 0x3
	;; [unrolled: 6-line block ×5, first 2 shown]
	v_mul_f64_e32 v[182:183], v[157:158], v[26:27]
	v_mul_f64_e32 v[26:27], v[0:1], v[26:27]
	s_wait_loadcnt 0x0
	v_mul_f64_e32 v[184:185], v[159:160], v[34:35]
	v_mul_f64_e32 v[34:35], v[2:3], v[34:35]
	v_fma_f64 v[20:21], v[20:21], v[24:25], -v[150:151]
	v_fma_f64 v[22:23], v[22:23], v[28:29], -v[161:162]
	v_fma_f64 v[28:29], v[62:63], v[28:29], v[30:31]
	v_fma_f64 v[30:31], v[60:61], v[24:25], v[186:187]
	v_fma_f64 v[16:17], v[16:17], v[24:25], -v[166:167]
	v_fma_f64 v[18:19], v[18:19], v[40:41], -v[168:169]
	v_fma_f64 v[40:41], v[58:59], v[40:41], v[42:43]
	v_fma_f64 v[42:43], v[56:57], v[24:25], v[188:189]
	;; [unrolled: 4-line block ×5, first 2 shown]
	v_fma_f64 v[0:1], v[0:1], v[24:25], -v[182:183]
	v_fma_f64 v[24:25], v[157:158], v[24:25], v[26:27]
	v_fma_f64 v[2:3], v[2:3], v[32:33], -v[184:185]
	v_fma_f64 v[26:27], v[159:160], v[32:33], v[34:35]
	v_and_or_b32 v170, 0x3fc, v94, v121
	ds_load_b64 v[120:121], v134
	ds_load_b64 v[150:151], v144
	;; [unrolled: 1-line block ×12, first 2 shown]
	v_lshl_add_u32 v193, v123, 3, 0
	v_and_or_b32 v168, 0x3fc, v106, v109
	v_and_or_b32 v169, 0x3fc, v93, v109
	;; [unrolled: 1-line block ×4, first 2 shown]
	v_lshlrev_b32_e32 v183, 4, v122
	v_lshl_add_u32 v186, v163, 3, 0
	v_lshlrev_b32_e32 v184, 4, v117
	v_lshlrev_b32_e32 v180, 4, v107
	v_lshl_add_u32 v187, v196, 3, 0
	v_lshlrev_b32_e32 v181, 4, v110
	v_add_f64_e64 v[20:21], v[64:65], -v[20:21]
	v_add_f64_e64 v[22:23], v[66:67], -v[22:23]
	v_lshl_add_u32 v188, v197, 3, 0
	v_lshlrev_b32_e32 v127, 4, v108
	s_wait_dscnt 0xb
	v_add_f64_e64 v[30:31], v[120:121], -v[30:31]
	s_wait_dscnt 0xa
	v_add_f64_e64 v[28:29], v[150:151], -v[28:29]
	v_add_f64_e64 v[16:17], v[68:69], -v[16:17]
	s_wait_dscnt 0x9
	v_add_f64_e64 v[42:43], v[161:162], -v[42:43]
	;; [unrolled: 3-line block ×11, first 2 shown]
	v_lshl_add_u32 v189, v168, 3, 0
	v_lshlrev_b32_e32 v185, 4, v119
	v_lshl_add_u32 v190, v169, 3, 0
	v_lshl_add_u32 v191, v170, 3, 0
	;; [unrolled: 1-line block ×4, first 2 shown]
	global_wb scope:SCOPE_SE
	s_barrier_signal -1
	s_barrier_wait -1
	global_inv scope:SCOPE_SE
	v_lshlrev_b32_e32 v153, 4, v116
	v_lshlrev_b32_e32 v182, 4, v96
	v_fma_f64 v[64:65], v[64:65], 2.0, -v[20:21]
	v_fma_f64 v[66:67], v[66:67], 2.0, -v[22:23]
	v_and_or_b32 v107, 0x1f8, v105, v110
	v_fma_f64 v[120:121], v[120:121], 2.0, -v[30:31]
	v_fma_f64 v[123:124], v[150:151], 2.0, -v[28:29]
	;; [unrolled: 1-line block ×22, first 2 shown]
	ds_store_2addr_b64 v186, v[64:65], v[20:21] offset1:2
	ds_store_2addr_b64 v111, v[66:67], v[22:23] offset1:2
	ds_store_2addr_b64 v187, v[68:69], v[16:17] offset1:2
	ds_store_2addr_b64 v188, v[70:71], v[18:19] offset1:2
	ds_store_2addr_b64 v189, v[72:73], v[12:13] offset1:2
	ds_store_2addr_b64 v118, v[74:75], v[14:15] offset1:2
	ds_store_2addr_b64 v190, v[76:77], v[8:9] offset1:2
	ds_store_2addr_b64 v191, v[78:79], v[10:11] offset1:2
	ds_store_2addr_b64 v192, v[80:81], v[4:5] offset1:2
	ds_store_2addr_b64 v193, v[82:83], v[6:7] offset1:2
	ds_store_2addr_b64 v109, v[84:85], v[0:1] offset1:2
	ds_store_2addr_b64 v143, v[86:87], v[2:3] offset1:2
	global_wb scope:SCOPE_SE
	s_wait_dscnt 0x0
	s_barrier_signal -1
	s_barrier_wait -1
	global_inv scope:SCOPE_SE
	ds_load_b64 v[154:155], v134
	ds_load_b64 v[156:157], v144
	;; [unrolled: 1-line block ×12, first 2 shown]
	ds_load_2addr_b64 v[0:3], v146 offset0:116 offset1:179
	ds_load_2addr_b64 v[4:7], v147 offset0:114 offset1:177
	;; [unrolled: 1-line block ×6, first 2 shown]
	global_wb scope:SCOPE_SE
	s_wait_dscnt 0x0
	s_barrier_signal -1
	s_barrier_wait -1
	global_inv scope:SCOPE_SE
	ds_store_2addr_b64 v186, v[120:121], v[30:31] offset1:2
	ds_store_2addr_b64 v111, v[123:124], v[28:29] offset1:2
	;; [unrolled: 1-line block ×12, first 2 shown]
	global_wb scope:SCOPE_SE
	s_wait_dscnt 0x0
	s_barrier_signal -1
	s_barrier_wait -1
	global_inv scope:SCOPE_SE
	s_clause 0x5
	global_load_b128 v[24:27], v183, s[4:5] offset:32
	global_load_b128 v[28:31], v184, s[4:5] offset:32
	;; [unrolled: 1-line block ×6, first 2 shown]
	v_lshlrev_b32_e32 v56, 4, v97
	v_lshlrev_b32_e32 v60, 4, v98
	s_clause 0x3
	global_load_b128 v[48:51], v153, s[4:5] offset:32
	global_load_b128 v[52:55], v182, s[4:5] offset:32
	;; [unrolled: 1-line block ×4, first 2 shown]
	ds_load_2addr_b64 v[64:67], v146 offset0:116 offset1:179
	ds_load_2addr_b64 v[68:71], v147 offset0:114 offset1:177
	;; [unrolled: 1-line block ×6, first 2 shown]
	v_and_or_b32 v118, 0x3f8, v106, v117
	v_and_or_b32 v91, 0x78, v100, v117
	v_and_b32_e32 v111, 7, v132
	v_add_nc_u32_e32 v153, 0x1000, v134
	v_lshl_add_u32 v127, v107, 3, 0
	v_lshl_add_u32 v143, v118, 3, 0
	s_wait_loadcnt_dscnt 0x704
	v_mul_f64_e32 v[125:126], v[68:69], v[34:35]
	s_wait_loadcnt 0x6
	v_mul_f64_e32 v[150:151], v[70:71], v[38:39]
	v_mul_f64_e32 v[120:121], v[64:65], v[30:31]
	;; [unrolled: 1-line block ×7, first 2 shown]
	s_wait_dscnt 0x3
	v_mul_f64_e32 v[180:181], v[72:73], v[30:31]
	s_wait_loadcnt_dscnt 0x502
	v_mul_f64_e32 v[184:185], v[76:77], v[42:43]
	v_mul_f64_e32 v[42:43], v[12:13], v[42:43]
	;; [unrolled: 1-line block ×3, first 2 shown]
	s_wait_loadcnt 0x4
	v_mul_f64_e32 v[182:183], v[74:75], v[46:47]
	v_mul_f64_e32 v[46:47], v[10:11], v[46:47]
	s_wait_loadcnt 0x3
	v_mul_f64_e32 v[186:187], v[78:79], v[50:51]
	v_mul_f64_e32 v[50:51], v[14:15], v[50:51]
	s_wait_dscnt 0x1
	v_mul_f64_e32 v[188:189], v[80:81], v[30:31]
	v_mul_f64_e32 v[30:31], v[16:17], v[30:31]
	s_wait_loadcnt 0x2
	v_mul_f64_e32 v[190:191], v[82:83], v[54:55]
	v_mul_f64_e32 v[54:55], v[18:19], v[54:55]
	s_wait_loadcnt_dscnt 0x100
	v_mul_f64_e32 v[192:193], v[84:85], v[58:59]
	v_mul_f64_e32 v[58:59], v[20:21], v[58:59]
	s_wait_loadcnt 0x0
	v_mul_f64_e32 v[194:195], v[86:87], v[62:63]
	v_mul_f64_e32 v[62:63], v[22:23], v[62:63]
	v_fma_f64 v[4:5], v[4:5], v[32:33], -v[125:126]
	v_fma_f64 v[6:7], v[6:7], v[36:37], -v[150:151]
	;; [unrolled: 1-line block ×3, first 2 shown]
	v_fma_f64 v[32:33], v[68:69], v[32:33], v[34:35]
	v_fma_f64 v[34:35], v[70:71], v[36:37], v[38:39]
	v_fma_f64 v[38:39], v[64:65], v[28:29], v[196:197]
	v_fma_f64 v[2:3], v[2:3], v[24:25], -v[123:124]
	v_fma_f64 v[24:25], v[66:67], v[24:25], v[26:27]
	v_fma_f64 v[8:9], v[8:9], v[28:29], -v[180:181]
	v_fma_f64 v[12:13], v[12:13], v[40:41], -v[184:185]
	v_fma_f64 v[36:37], v[76:77], v[40:41], v[42:43]
	v_fma_f64 v[42:43], v[72:73], v[28:29], v[198:199]
	v_fma_f64 v[10:11], v[10:11], v[44:45], -v[182:183]
	v_fma_f64 v[40:41], v[74:75], v[44:45], v[46:47]
	v_fma_f64 v[14:15], v[14:15], v[48:49], -v[186:187]
	;; [unrolled: 2-line block ×6, first 2 shown]
	v_fma_f64 v[46:47], v[86:87], v[60:61], v[62:63]
	ds_load_b64 v[105:106], v89
	ds_load_b64 v[89:90], v90
	;; [unrolled: 1-line block ×12, first 2 shown]
	v_and_or_b32 v84, 0x2f8, v92, v119
	v_and_or_b32 v85, 0x3f8, v93, v108
	;; [unrolled: 1-line block ×6, first 2 shown]
	v_lshl_add_u32 v150, v84, 3, 0
	v_lshl_add_u32 v151, v85, 3, 0
	;; [unrolled: 1-line block ×3, first 2 shown]
	v_and_or_b32 v88, 0x4f8, v102, v96
	v_lshl_add_u32 v99, v95, 3, 0
	v_lshlrev_b32_e32 v97, 5, v111
	v_add_f64_e64 v[4:5], v[158:159], -v[4:5]
	v_add_f64_e64 v[6:7], v[160:161], -v[6:7]
	v_add_f64_e64 v[0:1], v[154:155], -v[0:1]
	v_lshl_add_u32 v126, v101, 3, 0
	global_wb scope:SCOPE_SE
	s_wait_dscnt 0x0
	v_add_f64_e64 v[38:39], v[109:110], -v[38:39]
	v_add_f64_e64 v[2:3], v[156:157], -v[2:3]
	;; [unrolled: 1-line block ×21, first 2 shown]
	s_barrier_signal -1
	s_barrier_wait -1
	global_inv scope:SCOPE_SE
	v_fma_f64 v[64:65], v[158:159], 2.0, -v[4:5]
	v_fma_f64 v[66:67], v[160:161], 2.0, -v[6:7]
	;; [unrolled: 1-line block ×3, first 2 shown]
	v_lshl_add_u32 v154, v86, 3, 0
	v_lshl_add_u32 v155, v87, 3, 0
	v_fma_f64 v[84:85], v[109:110], 2.0, -v[38:39]
	v_fma_f64 v[26:27], v[156:157], 2.0, -v[2:3]
	;; [unrolled: 1-line block ×3, first 2 shown]
	v_lshl_add_u32 v157, v92, 3, 0
	v_fma_f64 v[91:92], v[122:123], 2.0, -v[32:33]
	v_lshl_add_u32 v158, v93, 3, 0
	v_fma_f64 v[93:94], v[124:125], 2.0, -v[34:35]
	v_fma_f64 v[68:69], v[162:163], 2.0, -v[8:9]
	;; [unrolled: 1-line block ×16, first 2 shown]
	v_lshl_add_u32 v156, v88, 3, 0
	v_fma_f64 v[88:89], v[89:90], 2.0, -v[46:47]
	ds_store_2addr_b64 v98, v[24:25], v[0:1] offset1:4
	ds_store_2addr_b64 v99, v[26:27], v[2:3] offset1:4
	ds_store_2addr_b64 v126, v[64:65], v[4:5] offset1:4
	ds_store_2addr_b64 v127, v[66:67], v[6:7] offset1:4
	ds_store_2addr_b64 v143, v[68:69], v[8:9] offset1:4
	ds_store_2addr_b64 v150, v[70:71], v[10:11] offset1:4
	ds_store_2addr_b64 v151, v[72:73], v[12:13] offset1:4
	ds_store_2addr_b64 v154, v[74:75], v[14:15] offset1:4
	ds_store_2addr_b64 v155, v[76:77], v[16:17] offset1:4
	ds_store_2addr_b64 v156, v[78:79], v[18:19] offset1:4
	ds_store_2addr_b64 v157, v[80:81], v[20:21] offset1:4
	ds_store_2addr_b64 v158, v[82:83], v[22:23] offset1:4
	global_wb scope:SCOPE_SE
	s_wait_dscnt 0x0
	s_barrier_signal -1
	s_barrier_wait -1
	global_inv scope:SCOPE_SE
	ds_load_b64 v[116:117], v134
	ds_load_2addr_b64 v[0:3], v147 offset0:177 offset1:240
	ds_load_2addr_b64 v[24:27], v153 offset0:55 offset1:118
	ds_load_b64 v[109:110], v142
	ds_load_b64 v[107:108], v139
	;; [unrolled: 1-line block ×8, first 2 shown]
	ds_load_b64 v[122:123], v134 offset:11592
	ds_load_2addr_b64 v[20:23], v148 offset0:47 offset1:110
	ds_load_2addr_b64 v[16:19], v153 offset0:181 offset1:244
	;; [unrolled: 1-line block ×5, first 2 shown]
	global_wb scope:SCOPE_SE
	s_wait_dscnt 0x0
	s_barrier_signal -1
	s_barrier_wait -1
	global_inv scope:SCOPE_SE
	ds_store_2addr_b64 v98, v[84:85], v[38:39] offset1:4
	ds_store_2addr_b64 v99, v[86:87], v[60:61] offset1:4
	;; [unrolled: 1-line block ×12, first 2 shown]
	global_wb scope:SCOPE_SE
	s_wait_dscnt 0x0
	s_barrier_signal -1
	s_barrier_wait -1
	global_inv scope:SCOPE_SE
	global_load_b128 v[28:31], v97, s[4:5] offset:96
	v_and_b32_e32 v150, 7, v133
	v_and_b32_e32 v157, 7, v164
	;; [unrolled: 1-line block ×5, first 2 shown]
	v_lshlrev_b32_e32 v32, 5, v150
	v_lshlrev_b32_e32 v60, 5, v157
	v_and_b32_e32 v156, 7, v131
	v_lshlrev_b32_e32 v40, 5, v158
	v_lshlrev_b32_e32 v41, 5, v154
	s_clause 0x1
	global_load_b128 v[88:91], v32, s[4:5] offset:96
	global_load_b128 v[84:87], v60, s[4:5] offset:96
	v_lshlrev_b32_e32 v61, 5, v155
	global_load_b128 v[80:83], v97, s[4:5] offset:112
	v_lshlrev_b32_e32 v62, 5, v156
	s_clause 0x7
	global_load_b128 v[32:35], v32, s[4:5] offset:112
	global_load_b128 v[44:47], v40, s[4:5] offset:96
	;; [unrolled: 1-line block ×8, first 2 shown]
	v_and_b32_e32 v151, 7, v128
	v_lshrrev_b32_e32 v170, 3, v129
	v_lshrrev_b32_e32 v159, 3, v164
	;; [unrolled: 1-line block ×4, first 2 shown]
	v_lshlrev_b32_e32 v76, 5, v151
	s_clause 0x3
	global_load_b128 v[64:67], v61, s[4:5] offset:112
	global_load_b128 v[60:63], v62, s[4:5] offset:112
	;; [unrolled: 1-line block ×4, first 2 shown]
	ds_load_2addr_b64 v[92:95], v153 offset0:55 offset1:118
	ds_load_b64 v[126:127], v137
	ds_load_b64 v[186:187], v136
	ds_load_2addr_b64 v[96:99], v148 offset0:47 offset1:110
	v_mul_lo_u32 v202, v170, 24
	ds_load_2addr_b64 v[170:173], v147 offset0:51 offset1:114
	v_lshrrev_b32_e32 v176, 3, v128
	v_mul_u32_u24_e32 v177, 24, v159
	v_lshrrev_b32_e32 v160, 3, v132
	v_lshrrev_b32_e32 v163, 3, v133
	;; [unrolled: 1-line block ×3, first 2 shown]
	v_mul_lo_u32 v203, v174, 24
	v_mul_lo_u32 v204, v175, 24
	;; [unrolled: 1-line block ×3, first 2 shown]
	v_or_b32_e32 v206, v177, v157
	ds_load_2addr_b64 v[174:177], v147 offset0:177 offset1:240
	v_mul_lo_u32 v178, v160, 24
	v_mul_lo_u32 v163, v163, 24
	;; [unrolled: 1-line block ×3, first 2 shown]
	ds_load_2addr_b64 v[159:162], v153 offset0:181 offset1:244
	ds_load_2addr_b64 v[166:169], v148 offset0:173 offset1:236
	v_or_b32_e32 v202, v202, v154
	v_or_b32_e32 v203, v203, v155
	ds_load_b64 v[154:155], v134 offset:11592
	v_or_b32_e32 v111, v178, v111
	v_or_b32_e32 v150, v163, v150
	;; [unrolled: 1-line block ×3, first 2 shown]
	ds_load_2addr_b64 v[178:181], v152 offset0:43 offset1:106
	v_and_b32_e32 v143, 0xff, v133
	v_or_b32_e32 v156, v204, v156
	v_lshl_add_u32 v202, v202, 3, 0
	v_lshl_add_u32 v203, v203, 3, 0
	s_delay_alu instid0(VALU_DEP_4)
	v_mul_lo_u16 v204, 0xab, v143
	s_wait_loadcnt_dscnt 0xf09
	v_mul_f64_e32 v[182:183], v[92:93], v[30:31]
	v_mul_f64_e32 v[30:31], v[24:25], v[30:31]
	s_wait_loadcnt 0xe
	v_mul_f64_e32 v[184:185], v[94:95], v[90:91]
	s_wait_loadcnt_dscnt 0xd08
	v_mul_f64_e32 v[188:189], v[126:127], v[86:87]
	v_mul_f64_e32 v[86:87], v[124:125], v[86:87]
	s_wait_loadcnt_dscnt 0xc06
	v_mul_f64_e32 v[190:191], v[96:97], v[82:83]
	v_mul_f64_e32 v[82:83], v[20:21], v[82:83]
	;; [unrolled: 1-line block ×3, first 2 shown]
	s_wait_loadcnt 0xb
	v_mul_f64_e32 v[192:193], v[98:99], v[34:35]
	v_mul_f64_e32 v[34:35], v[22:23], v[34:35]
	s_wait_loadcnt_dscnt 0xa03
	v_mul_f64_e32 v[194:195], v[159:160], v[46:47]
	s_wait_loadcnt_dscnt 0x802
	v_mul_f64_e32 v[157:158], v[166:167], v[58:59]
	v_mul_f64_e32 v[46:47], v[16:17], v[46:47]
	;; [unrolled: 1-line block ×4, first 2 shown]
	s_wait_loadcnt 0x7
	v_mul_f64_e32 v[198:199], v[168:169], v[50:51]
	v_mul_f64_e32 v[38:39], v[18:19], v[38:39]
	;; [unrolled: 1-line block ×3, first 2 shown]
	s_wait_loadcnt_dscnt 0x200
	v_mul_f64_e32 v[200:201], v[180:181], v[62:63]
	v_mul_f64_e32 v[62:63], v[6:7], v[62:63]
	v_fma_f64 v[24:25], v[24:25], v[28:29], -v[182:183]
	v_fma_f64 v[28:29], v[92:93], v[28:29], v[30:31]
	v_mul_f64_e32 v[30:31], v[170:171], v[54:55]
	v_mul_f64_e32 v[182:183], v[176:177], v[74:75]
	;; [unrolled: 1-line block ×6, first 2 shown]
	v_fma_f64 v[26:27], v[26:27], v[88:89], -v[184:185]
	v_fma_f64 v[188:189], v[124:125], v[84:85], -v[188:189]
	v_fma_f64 v[84:85], v[126:127], v[84:85], v[86:87]
	v_mul_f64_e32 v[86:87], v[178:179], v[66:67]
	v_mul_f64_e32 v[66:67], v[4:5], v[66:67]
	v_fma_f64 v[20:21], v[20:21], v[80:81], -v[190:191]
	v_fma_f64 v[80:81], v[96:97], v[80:81], v[82:83]
	s_wait_loadcnt 0x1
	v_mul_f64_e32 v[82:83], v[174:175], v[70:71]
	s_wait_loadcnt 0x0
	v_mul_f64_e32 v[96:97], v[154:155], v[78:79]
	v_fma_f64 v[88:89], v[94:95], v[88:89], v[90:91]
	v_fma_f64 v[22:23], v[22:23], v[32:33], -v[192:193]
	v_lshrrev_b16 v125, 12, v204
	v_fma_f64 v[32:33], v[98:99], v[32:33], v[34:35]
	v_fma_f64 v[16:17], v[16:17], v[44:45], -v[194:195]
	v_fma_f64 v[12:13], v[12:13], v[56:57], -v[157:158]
	v_fma_f64 v[34:35], v[159:160], v[44:45], v[46:47]
	v_fma_f64 v[44:45], v[166:167], v[56:57], v[58:59]
	v_fma_f64 v[18:19], v[18:19], v[36:37], -v[196:197]
	v_fma_f64 v[14:15], v[14:15], v[48:49], -v[198:199]
	v_fma_f64 v[36:37], v[161:162], v[36:37], v[38:39]
	v_fma_f64 v[38:39], v[168:169], v[48:49], v[50:51]
	v_fma_f64 v[6:7], v[6:7], v[60:61], -v[200:201]
	v_lshrrev_b16 v124, 12, v207
	ds_load_b64 v[90:91], v145
	ds_load_b64 v[94:95], v144
	ds_load_b64 v[184:185], v134
	v_lshrrev_b16 v126, 12, v208
	v_lshl_add_u32 v199, v150, 3, 0
	v_lshl_add_u32 v204, v163, 3, 0
	;; [unrolled: 1-line block ×4, first 2 shown]
	v_fma_f64 v[8:9], v[8:9], v[52:53], -v[30:31]
	v_mul_f64_e32 v[30:31], v[0:1], v[70:71]
	v_mul_f64_e32 v[70:71], v[122:123], v[78:79]
	v_fma_f64 v[2:3], v[2:3], v[72:73], -v[182:183]
	v_fma_f64 v[72:73], v[176:177], v[72:73], v[74:75]
	v_mul_lo_u16 v74, v125, 24
	v_fma_f64 v[46:47], v[170:171], v[52:53], v[54:55]
	v_fma_f64 v[10:11], v[10:11], v[40:41], -v[92:93]
	v_fma_f64 v[40:41], v[172:173], v[40:41], v[42:43]
	v_fma_f64 v[42:43], v[180:181], v[60:61], v[62:63]
	v_mul_lo_u16 v79, v124, 24
	v_or_b32_e32 v78, v205, v151
	v_fma_f64 v[4:5], v[4:5], v[64:65], -v[86:87]
	v_fma_f64 v[48:49], v[178:179], v[64:65], v[66:67]
	v_sub_nc_u16 v86, v133, v74
	v_sub_nc_u16 v79, v132, v79
	v_fma_f64 v[0:1], v[0:1], v[68:69], -v[82:83]
	v_fma_f64 v[74:75], v[122:123], v[76:77], -v[96:97]
	v_add_f64_e32 v[66:67], v[116:117], v[188:189]
	v_lshl_add_u32 v200, v78, 3, 0
	v_and_b32_e32 v122, 0xff, v79
	v_add_f64_e32 v[62:63], v[24:25], v[20:21]
	v_add_f64_e32 v[78:79], v[120:121], v[24:25]
	;; [unrolled: 1-line block ×6, first 2 shown]
	v_mul_lo_u16 v92, v126, 24
	ds_load_b64 v[52:53], v142
	ds_load_b64 v[54:55], v139
	ds_load_b64 v[56:57], v140
	ds_load_b64 v[58:59], v141
	v_add_f64_e32 v[190:191], v[36:37], v[38:39]
	v_and_b32_e32 v123, 0xff, v86
	v_add_f64_e64 v[86:87], v[28:29], -v[80:81]
	v_sub_nc_u16 v201, v164, v92
	s_wait_dscnt 0x5
	v_add_f64_e32 v[28:29], v[94:95], v[28:29]
	v_lshl_add_u32 v205, v156, 3, 0
	v_add_f64_e64 v[156:157], v[34:35], -v[44:45]
	v_add_f64_e64 v[160:161], v[36:37], -v[38:39]
	;; [unrolled: 1-line block ×3, first 2 shown]
	v_add_f64_e32 v[96:97], v[118:119], v[26:27]
	v_fma_f64 v[30:31], v[174:175], v[68:69], v[30:31]
	v_fma_f64 v[50:51], v[154:155], v[76:77], v[70:71]
	v_add_f64_e32 v[60:61], v[188:189], v[2:3]
	v_add_f64_e32 v[168:169], v[84:85], v[72:73]
	v_add_f64_e32 v[68:69], v[16:17], v[12:13]
	v_add_f64_e32 v[76:77], v[18:19], v[14:15]
	v_add_f64_e32 v[92:93], v[10:11], v[6:7]
	v_add_f64_e64 v[70:71], v[84:85], -v[72:73]
	v_add_f64_e32 v[194:195], v[40:41], v[42:43]
	s_wait_dscnt 0x4
	v_add_f64_e32 v[84:85], v[184:185], v[84:85]
	v_add_f64_e64 v[174:175], v[40:41], -v[42:43]
	v_add_f64_e32 v[82:83], v[8:9], v[4:5]
	v_add_f64_e32 v[192:193], v[46:47], v[48:49]
	v_add_f64_e64 v[188:189], v[188:189], -v[2:3]
	s_wait_dscnt 0x0
	v_add_f64_e32 v[40:41], v[58:59], v[40:41]
	v_add_f64_e32 v[34:35], v[52:53], v[34:35]
	;; [unrolled: 1-line block ×4, first 2 shown]
	v_add_f64_e64 v[166:167], v[46:47], -v[48:49]
	v_add_f64_e32 v[36:37], v[54:55], v[36:37]
	v_fma_f64 v[62:63], v[62:63], -0.5, v[120:121]
	v_add_f64_e32 v[46:47], v[56:57], v[46:47]
	v_add_f64_e32 v[20:21], v[78:79], v[20:21]
	v_fma_f64 v[78:79], v[172:173], -0.5, v[94:95]
	v_add_f64_e64 v[150:151], v[88:89], -v[32:33]
	v_add_f64_e64 v[26:27], v[26:27], -v[22:23]
	v_add_f64_e32 v[88:89], v[90:91], v[88:89]
	v_fma_f64 v[64:65], v[64:65], -0.5, v[118:119]
	v_fma_f64 v[90:91], v[176:177], -0.5, v[90:91]
	v_add_f64_e32 v[154:155], v[109:110], v[16:17]
	v_add_f64_e64 v[16:17], v[16:17], -v[12:13]
	v_fma_f64 v[52:53], v[180:181], -0.5, v[52:53]
	v_add_f64_e32 v[158:159], v[107:108], v[18:19]
	v_add_f64_e64 v[18:19], v[18:19], -v[14:15]
	;; [unrolled: 3-line block ×3, first 2 shown]
	v_add_f64_e32 v[170:171], v[101:102], v[10:11]
	v_add_f64_e64 v[10:11], v[10:11], -v[6:7]
	v_add_f64_e32 v[196:197], v[30:31], v[50:51]
	v_fma_f64 v[60:61], v[60:61], -0.5, v[116:117]
	v_fma_f64 v[66:67], v[168:169], -0.5, v[184:185]
	v_add_f64_e64 v[182:183], v[30:31], -v[50:51]
	v_fma_f64 v[68:69], v[68:69], -0.5, v[109:110]
	v_add_f64_e32 v[30:31], v[186:187], v[30:31]
	v_fma_f64 v[76:77], v[76:77], -0.5, v[107:108]
	v_fma_f64 v[92:93], v[92:93], -0.5, v[101:102]
	;; [unrolled: 1-line block ×3, first 2 shown]
	v_add_f64_e32 v[178:179], v[103:104], v[0:1]
	v_fma_f64 v[82:83], v[82:83], -0.5, v[105:106]
	v_fma_f64 v[56:57], v[192:193], -0.5, v[56:57]
	v_add_f64_e64 v[0:1], v[0:1], -v[74:75]
	v_add_f64_e32 v[116:117], v[84:85], v[72:73]
	v_add_f64_e32 v[28:29], v[28:29], v[80:81]
	v_fma_f64 v[98:99], v[98:99], -0.5, v[103:104]
	v_add_f64_e32 v[40:41], v[40:41], v[42:43]
	v_add_f64_e32 v[34:35], v[34:35], v[44:45]
	;; [unrolled: 1-line block ×5, first 2 shown]
	v_and_b32_e32 v121, 0xff, v201
	s_wait_alu 0xfffe
	v_fma_f64 v[46:47], v[24:25], s[8:9], v[78:79]
	v_fma_f64 v[24:25], v[24:25], s[6:7], v[78:79]
	v_lshlrev_b32_e32 v206, 5, v122
	v_add_f64_e32 v[32:33], v[88:89], v[32:33]
	v_fma_f64 v[84:85], v[150:151], s[6:7], v[64:65]
	v_fma_f64 v[48:49], v[26:27], s[8:9], v[90:91]
	;; [unrolled: 1-line block ×4, first 2 shown]
	v_add_f64_e32 v[12:13], v[154:155], v[12:13]
	v_add_f64_e32 v[14:15], v[158:159], v[14:15]
	v_lshlrev_b32_e32 v207, 5, v123
	global_wb scope:SCOPE_SE
	v_add_f64_e32 v[4:5], v[162:163], v[4:5]
	s_barrier_signal -1
	v_add_f64_e32 v[6:7], v[170:171], v[6:7]
	s_barrier_wait -1
	v_fma_f64 v[72:73], v[196:197], -0.5, v[186:187]
	v_fma_f64 v[80:81], v[70:71], s[6:7], v[60:61]
	v_fma_f64 v[42:43], v[188:189], s[8:9], v[66:67]
	;; [unrolled: 1-line block ×7, first 2 shown]
	v_add_f64_e32 v[30:31], v[30:31], v[50:51]
	v_fma_f64 v[50:51], v[16:17], s[8:9], v[52:53]
	v_fma_f64 v[68:69], v[156:157], s[8:9], v[68:69]
	;; [unrolled: 1-line block ×15, first 2 shown]
	v_add_f64_e32 v[74:75], v[178:179], v[74:75]
	v_fma_f64 v[103:104], v[182:183], s[6:7], v[98:99]
	v_fma_f64 v[98:99], v[182:183], s[8:9], v[98:99]
	global_inv scope:SCOPE_SE
	ds_store_2addr_b64 v127, v[2:3], v[80:81] offset1:8
	ds_store_b64 v127, v[60:61] offset:128
	ds_store_2addr_b64 v198, v[20:21], v[70:71] offset1:8
	ds_store_b64 v198, v[62:63] offset:128
	;; [unrolled: 2-line block ×8, first 2 shown]
	v_fma_f64 v[58:59], v[0:1], s[8:9], v[72:73]
	v_fma_f64 v[66:67], v[0:1], s[6:7], v[72:73]
	global_wb scope:SCOPE_SE
	s_wait_dscnt 0x0
	s_barrier_signal -1
	s_barrier_wait -1
	global_inv scope:SCOPE_SE
	ds_load_b64 v[104:105], v134
	ds_load_b64 v[102:103], v142
	ds_load_b64 v[98:99], v139
	ds_load_b64 v[96:97], v140
	ds_load_b64 v[92:93], v141
	ds_load_b64 v[118:119], v137
	ds_load_b64 v[94:95], v136
	ds_load_b64 v[106:107], v145
	ds_load_b64 v[108:109], v144
	ds_load_b64 v[110:111], v134 offset:11592
	ds_load_2addr_b64 v[0:3], v147 offset0:177 offset1:240
	ds_load_2addr_b64 v[88:91], v153 offset0:55 offset1:118
	;; [unrolled: 1-line block ×7, first 2 shown]
	global_wb scope:SCOPE_SE
	s_wait_dscnt 0x0
	s_barrier_signal -1
	s_barrier_wait -1
	global_inv scope:SCOPE_SE
	ds_store_2addr_b64 v127, v[116:117], v[42:43] offset1:8
	ds_store_b64 v127, v[44:45] offset:128
	ds_store_2addr_b64 v198, v[28:29], v[46:47] offset1:8
	ds_store_b64 v198, v[24:25] offset:128
	;; [unrolled: 2-line block ×8, first 2 shown]
	v_lshlrev_b32_e32 v24, 5, v121
	global_wb scope:SCOPE_SE
	s_wait_dscnt 0x0
	s_barrier_signal -1
	s_barrier_wait -1
	global_inv scope:SCOPE_SE
	s_clause 0x3
	global_load_b128 v[168:171], v206, s[4:5] offset:352
	global_load_b128 v[176:179], v24, s[4:5] offset:352
	;; [unrolled: 1-line block ×4, first 2 shown]
	v_and_b32_e32 v167, 0xff, v165
	v_and_b32_e32 v166, 0xffff, v129
	;; [unrolled: 1-line block ×5, first 2 shown]
	v_mul_lo_u16 v4, 0xab, v167
	v_mul_u32_u24_e32 v5, 0xaaab, v166
	v_lshlrev_b32_e32 v121, 3, v121
	v_lshlrev_b32_e32 v122, 3, v122
	v_mul_u32_u24_e32 v25, 0xaaab, v120
	v_lshrrev_b16 v156, 12, v4
	v_lshrrev_b32_e32 v157, 20, v5
	v_mul_u32_u24_e32 v4, 0xaaab, v163
	v_mul_u32_u24_e32 v5, 0xaaab, v160
	v_lshrrev_b32_e32 v162, 20, v25
	v_mul_lo_u16 v6, v156, 24
	v_mul_lo_u16 v7, v157, 24
	v_lshrrev_b32_e32 v159, 20, v4
	v_lshrrev_b32_e32 v158, 20, v5
	v_mul_lo_u16 v40, v162, 24
	v_sub_nc_u16 v4, v165, v6
	v_sub_nc_u16 v5, v129, v7
	v_mul_lo_u16 v6, v159, 24
	v_mul_lo_u16 v7, v158, 24
	v_sub_nc_u16 v40, v128, v40
	v_and_b32_e32 v150, 0xff, v4
	v_and_b32_e32 v151, 0xffff, v5
	v_sub_nc_u16 v8, v130, v6
	v_sub_nc_u16 v16, v131, v7
	global_load_b128 v[4:7], v207, s[4:5] offset:368
	v_lshlrev_b32_e32 v17, 5, v150
	v_lshlrev_b32_e32 v18, 5, v151
	v_and_b32_e32 v154, 0xffff, v8
	v_and_b32_e32 v155, 0xffff, v16
	;; [unrolled: 1-line block ×3, first 2 shown]
	s_clause 0x4
	global_load_b128 v[12:15], v17, s[4:5] offset:352
	global_load_b128 v[8:11], v18, s[4:5] offset:352
	global_load_b128 v[20:23], v17, s[4:5] offset:368
	global_load_b128 v[16:19], v18, s[4:5] offset:368
	global_load_b128 v[184:187], v24, s[4:5] offset:368
	v_lshlrev_b32_e32 v28, 5, v154
	v_lshlrev_b32_e32 v29, 5, v155
	;; [unrolled: 1-line block ×4, first 2 shown]
	v_add_nc_u32_e32 v127, -9, v164
	s_clause 0x5
	global_load_b128 v[32:35], v28, s[4:5] offset:352
	global_load_b128 v[24:27], v29, s[4:5] offset:352
	;; [unrolled: 1-line block ×6, first 2 shown]
	ds_load_2addr_b64 v[188:191], v153 offset0:55 offset1:118
	ds_load_b64 v[196:197], v137
	ds_load_2addr_b64 v[56:59], v148 offset0:47 offset1:110
	ds_load_b64 v[116:117], v136
	ds_load_2addr_b64 v[60:63], v153 offset0:181 offset1:244
	ds_load_2addr_b64 v[64:67], v148 offset0:173 offset1:236
	;; [unrolled: 1-line block ×5, first 2 shown]
	ds_load_b64 v[210:211], v134 offset:11592
	v_mov_b32_e32 v101, 0
	s_wait_alu 0xf1ff
	v_cndmask_b32_e64 v127, v127, v132, s0
	s_wait_loadcnt_dscnt 0xf09
	v_mul_f64_e32 v[198:199], v[188:189], v[170:171]
	v_mul_f64_e32 v[170:171], v[88:89], v[170:171]
	s_wait_loadcnt 0xd
	v_mul_f64_e32 v[200:201], v[190:191], v[174:175]
	v_mul_f64_e32 v[174:175], v[90:91], v[174:175]
	s_wait_dscnt 0x8
	v_mul_f64_e32 v[202:203], v[196:197], v[178:179]
	v_mul_f64_e32 v[178:179], v[118:119], v[178:179]
	s_wait_loadcnt_dscnt 0xc07
	v_mul_f64_e32 v[204:205], v[56:57], v[182:183]
	v_mul_f64_e32 v[182:183], v[84:85], v[182:183]
	s_wait_loadcnt 0xb
	v_mul_f64_e32 v[206:207], v[58:59], v[6:7]
	v_fma_f64 v[198:199], v[88:89], v[168:169], -v[198:199]
	v_fma_f64 v[168:169], v[188:189], v[168:169], v[170:171]
	s_wait_loadcnt_dscnt 0xa05
	v_mul_f64_e32 v[170:171], v[60:61], v[14:15]
	s_wait_loadcnt 0x9
	v_mul_f64_e32 v[188:189], v[62:63], v[10:11]
	v_fma_f64 v[90:91], v[90:91], v[172:173], -v[200:201]
	v_fma_f64 v[172:173], v[190:191], v[172:173], v[174:175]
	s_wait_loadcnt_dscnt 0x603
	v_mul_f64_e32 v[174:175], v[50:51], v[186:187]
	v_mul_f64_e32 v[186:187], v[2:3], v[186:187]
	v_fma_f64 v[118:119], v[118:119], v[176:177], -v[202:203]
	s_wait_loadcnt_dscnt 0x402
	v_mul_f64_e32 v[202:203], v[54:55], v[26:27]
	v_fma_f64 v[176:177], v[196:197], v[176:177], v[178:179]
	s_wait_loadcnt_dscnt 0x301
	v_mul_f64_e32 v[178:179], v[192:193], v[38:39]
	s_wait_loadcnt 0x2
	v_mul_f64_e32 v[196:197], v[194:195], v[30:31]
	v_mul_f64_e32 v[208:209], v[66:67], v[18:19]
	v_fma_f64 v[84:85], v[84:85], v[180:181], -v[204:205]
	v_fma_f64 v[56:57], v[56:57], v[180:181], v[182:183]
	ds_load_b64 v[182:183], v144
	s_wait_loadcnt 0x1
	v_mul_f64_e32 v[180:181], v[48:49], v[42:43]
	v_mul_f64_e32 v[200:201], v[64:65], v[22:23]
	;; [unrolled: 1-line block ×8, first 2 shown]
	v_lshlrev_b64_e32 v[88:89], 4, v[100:101]
	v_lshlrev_b32_e32 v100, 1, v127
	v_lshlrev_b32_e32 v127, 3, v127
	s_delay_alu instid0(VALU_DEP_2) | instskip(SKIP_2) | instid1(VALU_DEP_3)
	v_lshlrev_b64_e32 v[100:101], 4, v[100:101]
	v_fma_f64 v[204:205], v[86:87], v[4:5], -v[206:207]
	v_mul_f64_e32 v[86:87], v[86:87], v[6:7]
	v_add_co_u32 v100, s0, s4, v100
	s_wait_alu 0xf1ff
	s_delay_alu instid0(VALU_DEP_4)
	v_add_co_ci_u32_e64 v101, s0, s5, v101, s0
	v_fma_f64 v[80:81], v[80:81], v[12:13], -v[170:171]
	v_fma_f64 v[170:171], v[82:83], v[8:9], -v[188:189]
	v_mul_f64_e32 v[82:83], v[82:83], v[10:11]
	v_fma_f64 v[174:175], v[2:3], v[184:185], -v[174:175]
	v_fma_f64 v[50:51], v[50:51], v[184:185], v[186:187]
	ds_load_b64 v[186:187], v145
	v_fma_f64 v[184:185], v[74:75], v[24:25], -v[202:203]
	v_mul_f64_e32 v[74:75], v[74:75], v[26:27]
	v_mul_u32_u24_e32 v27, 0xe38f, v160
	v_fma_f64 v[68:69], v[68:69], v[36:37], -v[178:179]
	v_fma_f64 v[178:179], v[70:71], v[28:29], -v[196:197]
	v_mul_f64_e32 v[70:71], v[70:71], v[30:31]
	v_fma_f64 v[188:189], v[78:79], v[16:17], -v[208:209]
	ds_load_b64 v[78:79], v134
	s_wait_loadcnt_dscnt 0x3
	v_mul_f64_e32 v[6:7], v[210:211], v[46:47]
	v_lshrrev_b32_e32 v30, 22, v27
	v_and_b32_e32 v27, 0xffff, v124
	v_and_b32_e32 v31, 0xffff, v125
	v_fma_f64 v[124:125], v[0:1], v[40:41], -v[180:181]
	v_mul_f64_e32 v[0:1], v[0:1], v[42:43]
	v_mul_f64_e32 v[46:47], v[110:111], v[46:47]
	v_mul_u32_u24_e32 v10, 0xe38f, v166
	v_mul_u32_u24_e32 v11, 0xe38f, v163
	v_fma_f64 v[76:77], v[76:77], v[20:21], -v[200:201]
	v_fma_f64 v[12:13], v[60:61], v[12:13], v[14:15]
	v_fma_f64 v[14:15], v[64:65], v[20:21], v[22:23]
	v_lshrrev_b32_e32 v10, 22, v10
	v_lshrrev_b32_e32 v26, 22, v11
	v_fma_f64 v[16:17], v[66:67], v[16:17], v[18:19]
	v_fma_f64 v[72:73], v[72:73], v[32:33], -v[190:191]
	v_fma_f64 v[18:19], v[52:53], v[32:33], v[34:35]
	v_mul_lo_u16 v42, 0x48, v10
	v_fma_f64 v[4:5], v[58:59], v[4:5], v[86:87]
	v_mul_lo_u16 v43, 0x48, v26
	;; [unrolled: 2-line block ×3, first 2 shown]
	v_sub_nc_u16 v129, v129, v42
	v_mul_lo_u16 v42, 0x48, v30
	v_sub_nc_u16 v130, v130, v43
	v_mul_lo_u16 v3, v167, 57
	v_fma_f64 v[8:9], v[62:63], v[8:9], v[82:83]
	v_lshrrev_b16 v2, 12, v2
	v_sub_nc_u16 v131, v131, v42
	v_and_b32_e32 v11, 0xffff, v126
	v_and_b32_e32 v126, 0xffff, v156
	v_fma_f64 v[22:23], v[54:55], v[24:25], v[74:75]
	v_mul_u32_u24_e32 v156, 0x240, v159
	v_mul_lo_u16 v159, 0x48, v2
	v_lshrrev_b16 v3, 12, v3
	v_fma_f64 v[24:25], v[194:195], v[28:29], v[70:71]
	v_mul_u32_u24_e32 v143, 0x240, v157
	v_mul_u32_u24_e32 v157, 0x240, v158
	v_fma_f64 v[42:43], v[110:111], v[44:45], -v[6:7]
	v_mul_u32_u24_e32 v110, 0x240, v11
	v_sub_nc_u16 v6, v133, v159
	v_mul_u32_u24_e32 v159, 0x240, v31
	v_and_b32_e32 v11, 0xffff, v129
	v_fma_f64 v[0:1], v[48:49], v[40:41], v[0:1]
	v_fma_f64 v[28:29], v[210:211], v[44:45], v[46:47]
	v_and_b32_e32 v31, 0xffff, v131
	v_lshlrev_b32_e32 v129, 3, v150
	v_lshlrev_b32_e32 v131, 3, v154
	;; [unrolled: 1-line block ×3, first 2 shown]
	v_mul_lo_u16 v160, 0x48, v3
	v_add_f64_e32 v[40:41], v[118:119], v[174:175]
	v_mul_u32_u24_e32 v111, 0x240, v27
	v_add3_u32 v131, 0, v156, v131
	v_add3_u32 v218, 0, v157, v150
	v_add_f64_e32 v[156:157], v[176:177], v[50:51]
	v_sub_nc_u16 v7, v165, v160
	v_and_b32_e32 v27, 0xffff, v130
	v_lshlrev_b32_e32 v130, 3, v151
	v_lshlrev_b32_e32 v151, 3, v161
	v_add_f64_e32 v[44:45], v[198:199], v[84:85]
	v_add_f64_e32 v[60:61], v[108:109], v[198:199]
	;; [unrolled: 1-line block ×13, first 2 shown]
	v_add_f64_e64 v[54:55], v[176:177], -v[50:51]
	v_add_f64_e32 v[200:201], v[22:23], v[24:25]
	s_wait_dscnt 0x0
	v_add_f64_e32 v[176:177], v[78:79], v[176:177]
	ds_load_b64 v[32:33], v142
	ds_load_b64 v[34:35], v139
	;; [unrolled: 1-line block ×4, first 2 shown]
	v_add_f64_e32 v[74:75], v[124:125], v[42:43]
	v_add_f64_e32 v[48:49], v[104:105], v[118:119]
	v_add_f64_e64 v[118:119], v[118:119], -v[174:175]
	v_add_f64_e64 v[64:65], v[168:169], -v[56:57]
	;; [unrolled: 1-line block ×3, first 2 shown]
	v_add_f64_e32 v[168:169], v[182:183], v[168:169]
	v_add_f64_e32 v[202:203], v[0:1], v[28:29]
	v_add_f64_e64 v[192:193], v[0:1], -v[28:29]
	v_add_f64_e32 v[0:1], v[116:117], v[0:1]
	v_mul_u32_u24_e32 v126, 0x240, v126
	v_add_f64_e32 v[70:71], v[106:107], v[90:91]
	v_add_f64_e64 v[82:83], v[172:173], -v[4:5]
	v_fma_f64 v[40:41], v[40:41], -0.5, v[104:105]
	v_add_f64_e32 v[104:105], v[186:187], v[172:173]
	v_add_f64_e64 v[90:91], v[90:91], -v[204:205]
	v_add_f64_e64 v[80:81], v[80:81], -v[76:77]
	v_fma_f64 v[78:79], v[156:157], -0.5, v[78:79]
	v_mul_u32_u24_e32 v158, 0x240, v162
	v_add3_u32 v212, 0, v110, v121
	v_add3_u32 v214, 0, v111, v122
	v_add_f64_e64 v[110:111], v[12:13], -v[14:15]
	v_fma_f64 v[44:45], v[44:45], -0.5, v[108:109]
	v_add_f64_e32 v[60:61], v[60:61], v[84:85]
	v_fma_f64 v[84:85], v[160:161], -0.5, v[182:183]
	v_fma_f64 v[46:47], v[46:47], -0.5, v[106:107]
	v_add_f64_e32 v[76:77], v[86:87], v[76:77]
	v_fma_f64 v[86:87], v[166:167], -0.5, v[186:187]
	v_fma_f64 v[52:53], v[52:53], -0.5, v[102:103]
	s_wait_dscnt 0x3
	v_add_f64_e32 v[12:13], v[32:33], v[12:13]
	v_fma_f64 v[32:33], v[190:191], -0.5, v[32:33]
	v_add3_u32 v217, 0, v126, v129
	v_add3_u32 v143, 0, v143, v130
	v_add_f64_e32 v[121:122], v[98:99], v[170:171]
	v_add_f64_e64 v[129:130], v[8:9], -v[16:17]
	v_add_f64_e64 v[102:103], v[170:171], -v[188:189]
	v_fma_f64 v[58:59], v[58:59], -0.5, v[98:99]
	s_wait_dscnt 0x2
	v_add_f64_e32 v[8:9], v[34:35], v[8:9]
	v_fma_f64 v[34:35], v[194:195], -0.5, v[34:35]
	v_add3_u32 v219, 0, v158, v151
	v_add_f64_e32 v[150:151], v[96:97], v[72:73]
	v_add_f64_e64 v[154:155], v[18:19], -v[20:21]
	v_add_f64_e64 v[72:73], v[72:73], -v[68:69]
	v_fma_f64 v[62:63], v[62:63], -0.5, v[96:97]
	s_wait_dscnt 0x1
	v_add_f64_e32 v[18:19], v[36:37], v[18:19]
	v_fma_f64 v[36:37], v[196:197], -0.5, v[36:37]
	;; [unrolled: 8-line block ×3, first 2 shown]
	v_add_f64_e32 v[180:181], v[94:95], v[124:125]
	v_add_f64_e64 v[92:93], v[124:125], -v[42:43]
	v_fma_f64 v[74:75], v[74:75], -0.5, v[94:95]
	v_add_f64_e32 v[106:107], v[176:177], v[50:51]
	v_fma_f64 v[50:51], v[202:203], -0.5, v[116:117]
	v_add_f64_e32 v[48:49], v[48:49], v[174:175]
	v_fma_f64 v[108:109], v[54:55], s[6:7], v[40:41]
	v_add_f64_e32 v[0:1], v[0:1], v[28:29]
	v_fma_f64 v[28:29], v[118:119], s[8:9], v[78:79]
	v_fma_f64 v[40:41], v[54:55], s[8:9], v[40:41]
	;; [unrolled: 1-line block ×3, first 2 shown]
	v_add_f64_e32 v[56:57], v[168:169], v[56:57]
	v_fma_f64 v[54:55], v[64:65], s[6:7], v[44:45]
	v_add_f64_e32 v[4:5], v[104:105], v[4:5]
	v_fma_f64 v[104:105], v[198:199], s[8:9], v[84:85]
	v_fma_f64 v[44:45], v[64:65], s[8:9], v[44:45]
	;; [unrolled: 1-line block ×3, first 2 shown]
	v_add_f64_e32 v[70:71], v[70:71], v[204:205]
	v_fma_f64 v[64:65], v[82:83], s[6:7], v[46:47]
	v_fma_f64 v[118:119], v[90:91], s[8:9], v[86:87]
	;; [unrolled: 1-line block ×5, first 2 shown]
	v_add_f64_e32 v[12:13], v[12:13], v[14:15]
	v_fma_f64 v[90:91], v[80:81], s[8:9], v[32:33]
	v_fma_f64 v[52:53], v[110:111], s[8:9], v[52:53]
	v_fma_f64 v[80:81], v[80:81], s[6:7], v[32:33]
	v_add_f64_e32 v[94:95], v[121:122], v[188:189]
	v_fma_f64 v[110:111], v[129:130], s[6:7], v[58:59]
	v_add_f64_e32 v[8:9], v[8:9], v[16:17]
	v_fma_f64 v[125:126], v[102:103], s[8:9], v[34:35]
	v_fma_f64 v[58:59], v[129:130], s[8:9], v[58:59]
	v_fma_f64 v[102:103], v[102:103], s[6:7], v[34:35]
	v_add_f64_e32 v[68:69], v[150:151], v[68:69]
	v_fma_f64 v[116:117], v[154:155], s[6:7], v[62:63]
	;; [unrolled: 6-line block ×4, first 2 shown]
	v_fma_f64 v[150:151], v[92:93], s[8:9], v[50:51]
	v_fma_f64 v[74:75], v[192:193], s[8:9], v[74:75]
	;; [unrolled: 1-line block ×3, first 2 shown]
	v_and_b32_e32 v7, 0xff, v7
	v_and_b32_e32 v6, 0xff, v6
	global_wb scope:SCOPE_SE
	s_barrier_signal -1
	s_barrier_wait -1
	v_lshlrev_b32_e32 v215, 5, v7
	v_lshlrev_b32_e32 v213, 5, v6
	global_inv scope:SCOPE_SE
	ds_store_2addr_b64 v212, v[48:49], v[108:109] offset1:24
	ds_store_b64 v212, v[40:41] offset:384
	ds_store_2addr_b64 v214, v[60:61], v[54:55] offset1:24
	ds_store_b64 v214, v[44:45] offset:384
	;; [unrolled: 2-line block ×8, first 2 shown]
	global_wb scope:SCOPE_SE
	s_wait_dscnt 0x0
	s_barrier_signal -1
	s_barrier_wait -1
	global_inv scope:SCOPE_SE
	ds_load_b64 v[162:163], v134
	ds_load_b64 v[198:199], v142
	;; [unrolled: 1-line block ×9, first 2 shown]
	ds_load_b64 v[74:75], v134 offset:11592
	ds_load_2addr_b64 v[32:35], v147 offset0:177 offset1:240
	ds_load_2addr_b64 v[18:21], v153 offset0:55 offset1:118
	;; [unrolled: 1-line block ×7, first 2 shown]
	global_wb scope:SCOPE_SE
	s_wait_dscnt 0x0
	s_barrier_signal -1
	s_barrier_wait -1
	global_inv scope:SCOPE_SE
	ds_store_2addr_b64 v212, v[106:107], v[28:29] offset1:24
	ds_store_b64 v212, v[78:79] offset:384
	ds_store_2addr_b64 v214, v[56:57], v[104:105] offset1:24
	ds_store_b64 v214, v[84:85] offset:384
	;; [unrolled: 2-line block ×8, first 2 shown]
	v_lshlrev_b32_e32 v0, 5, v11
	global_wb scope:SCOPE_SE
	s_wait_dscnt 0x0
	s_barrier_signal -1
	s_barrier_wait -1
	global_inv scope:SCOPE_SE
	s_clause 0x1
	global_load_b128 v[56:59], v[100:101], off offset:1120
	global_load_b128 v[60:63], v213, s[4:5] offset:1120
	v_lshlrev_b32_e32 v4, 5, v27
	s_clause 0x5
	global_load_b128 v[76:79], v[100:101], off offset:1136
	global_load_b128 v[80:83], v213, s[4:5] offset:1136
	global_load_b128 v[84:87], v215, s[4:5] offset:1120
	;; [unrolled: 1-line block ×5, first 2 shown]
	v_add_co_u32 v0, s0, s4, v88
	v_lshlrev_b32_e32 v5, 5, v31
	s_wait_alu 0xf1ff
	v_add_co_ci_u32_e64 v1, s0, s5, v89, s0
	s_clause 0x4
	global_load_b128 v[116:119], v4, s[4:5] offset:1120
	global_load_b128 v[121:124], v5, s[4:5] offset:1120
	global_load_b128 v[66:69], v[0:1], off offset:1136
	global_load_b128 v[154:157], v4, s[4:5] offset:1136
	global_load_b128 v[158:161], v5, s[4:5] offset:1136
	v_mul_u32_u24_e32 v4, 0xe38f, v120
	global_load_b128 v[96:99], v[0:1], off offset:1120
	v_cmp_lt_u32_e64 s0, 8, v164
	v_lshlrev_b32_e32 v6, 3, v6
	v_mul_u32_u24_e32 v10, 0x6c0, v10
	v_lshrrev_b32_e32 v4, 22, v4
	v_mul_u32_u24_e32 v26, 0x6c0, v26
	v_mul_u32_u24_e32 v30, 0x6c0, v30
	v_lshlrev_b32_e32 v7, 3, v7
	v_lshlrev_b32_e32 v11, 3, v11
	v_mul_lo_u16 v4, 0x48, v4
	v_lshlrev_b32_e32 v27, 3, v27
	v_lshlrev_b32_e32 v31, 3, v31
	s_delay_alu instid0(VALU_DEP_3) | instskip(NEXT) | instid1(VALU_DEP_1)
	v_sub_nc_u16 v0, v128, v4
	v_and_b32_e32 v143, 0xffff, v0
	s_delay_alu instid0(VALU_DEP_1)
	v_lshlrev_b32_e32 v0, 5, v143
	s_clause 0x1
	global_load_b128 v[128:131], v0, s[4:5] offset:1120
	global_load_b128 v[166:169], v0, s[4:5] offset:1136
	ds_load_2addr_b64 v[170:173], v153 offset0:55 offset1:118
	ds_load_2addr_b64 v[174:177], v148 offset0:47 offset1:110
	;; [unrolled: 1-line block ×7, first 2 shown]
	ds_load_b64 v[125:126], v137
	ds_load_b64 v[12:13], v136
	;; [unrolled: 1-line block ×3, first 2 shown]
	s_wait_loadcnt_dscnt 0xf09
	v_mul_f64_e32 v[0:1], v[170:171], v[58:59]
	s_wait_loadcnt 0xe
	v_mul_f64_e32 v[4:5], v[172:173], v[62:63]
	s_wait_loadcnt_dscnt 0xd08
	v_mul_f64_e32 v[8:9], v[174:175], v[78:79]
	s_wait_loadcnt 0xc
	v_mul_f64_e32 v[28:29], v[176:177], v[82:83]
	s_wait_loadcnt_dscnt 0x907
	v_mul_f64_e32 v[64:65], v[180:181], v[106:107]
	v_mul_f64_e32 v[46:47], v[178:179], v[86:87]
	s_wait_dscnt 0x6
	v_mul_f64_e32 v[72:73], v[182:183], v[92:93]
	s_wait_loadcnt_dscnt 0x705
	v_mul_f64_e32 v[94:95], v[186:187], v[118:119]
	v_mul_f64_e32 v[88:89], v[184:185], v[110:111]
	s_wait_loadcnt 0x6
	v_mul_f64_e32 v[100:101], v[188:189], v[123:124]
	s_wait_loadcnt_dscnt 0x504
	v_mul_f64_e32 v[102:103], v[192:193], v[68:69]
	v_mul_f64_e32 v[68:69], v[34:35], v[68:69]
	s_wait_loadcnt_dscnt 0x403
	v_mul_f64_e32 v[150:151], v[194:195], v[156:157]
	s_wait_loadcnt 0x3
	v_mul_f64_e32 v[212:213], v[196:197], v[160:161]
	v_mul_f64_e32 v[62:63], v[20:21], v[62:63]
	v_mul_f64_e32 v[78:79], v[22:23], v[78:79]
	v_mul_f64_e32 v[58:59], v[18:19], v[58:59]
	v_fma_f64 v[18:19], v[18:19], v[56:57], -v[0:1]
	v_fma_f64 v[16:17], v[20:21], v[60:61], -v[4:5]
	;; [unrolled: 1-line block ×5, first 2 shown]
	v_mul_f64_e32 v[28:29], v[40:41], v[106:107]
	v_mul_f64_e32 v[106:107], v[48:49], v[118:119]
	v_fma_f64 v[64:65], v[48:49], v[116:117], -v[94:95]
	v_mul_f64_e32 v[48:49], v[50:51], v[123:124]
	v_mul_f64_e32 v[0:1], v[24:25], v[82:83]
	ds_load_b64 v[24:25], v134 offset:11592
	s_wait_loadcnt_dscnt 0x203
	v_mul_f64_e32 v[4:5], v[125:126], v[98:99]
	v_mul_f64_e32 v[8:9], v[38:39], v[86:87]
	v_fma_f64 v[38:39], v[38:39], v[84:85], -v[46:47]
	v_mul_f64_e32 v[82:83], v[42:43], v[92:93]
	v_fma_f64 v[46:47], v[42:43], v[90:91], -v[72:73]
	v_fma_f64 v[42:43], v[44:45], v[108:109], -v[88:89]
	v_mul_f64_e32 v[86:87], v[44:45], v[110:111]
	v_fma_f64 v[44:45], v[50:51], v[121:122], -v[100:101]
	s_wait_loadcnt 0x1
	v_mul_f64_e32 v[50:51], v[190:191], v[130:131]
	v_fma_f64 v[92:93], v[34:35], v[66:67], -v[102:103]
	v_fma_f64 v[40:41], v[192:193], v[66:67], v[68:69]
	v_mul_f64_e32 v[34:35], v[52:53], v[156:157]
	v_fma_f64 v[68:69], v[52:53], v[154:155], -v[150:151]
	v_fma_f64 v[66:67], v[54:55], v[158:159], -v[212:213]
	v_mul_f64_e32 v[52:53], v[54:55], v[160:161]
	v_fma_f64 v[76:77], v[174:175], v[76:77], v[78:79]
	v_add3_u32 v160, 0, v10, v11
                                        ; implicit-def: $vgpr10_vgpr11
	v_fma_f64 v[104:105], v[180:181], v[104:105], v[28:29]
	v_fma_f64 v[106:107], v[186:187], v[116:117], v[106:107]
	;; [unrolled: 1-line block ×3, first 2 shown]
	ds_load_b64 v[122:123], v145
	ds_load_b64 v[72:73], v134
	s_wait_loadcnt_dscnt 0x2
	v_mul_f64_e32 v[54:55], v[24:25], v[168:169]
	v_fma_f64 v[94:95], v[70:71], v[96:97], -v[4:5]
	v_mul_f64_e32 v[4:5], v[70:71], v[98:99]
	v_fma_f64 v[78:79], v[176:177], v[80:81], v[0:1]
	v_fma_f64 v[98:99], v[172:173], v[60:61], v[62:63]
	;; [unrolled: 1-line block ×3, first 2 shown]
	v_add_f64_e32 v[8:9], v[16:17], v[20:21]
	v_fma_f64 v[88:89], v[182:183], v[90:91], v[82:83]
	v_fma_f64 v[70:71], v[32:33], v[128:129], -v[50:51]
	v_mul_f64_e32 v[32:33], v[32:33], v[130:131]
	v_mul_f64_e32 v[50:51], v[74:75], v[168:169]
	v_add_f64_e32 v[28:29], v[38:39], v[46:47]
	v_fma_f64 v[90:91], v[184:185], v[108:109], v[86:87]
	v_fma_f64 v[108:109], v[194:195], v[154:155], v[34:35]
	v_add_f64_e32 v[34:35], v[22:23], v[42:43]
	v_add_f64_e32 v[48:49], v[64:65], v[68:69]
	v_fma_f64 v[116:117], v[196:197], v[158:159], v[52:53]
	v_add_f64_e32 v[60:61], v[200:201], v[22:23]
	v_add_f64_e32 v[62:63], v[202:203], v[64:65]
	;; [unrolled: 1-line block ×3, first 2 shown]
	v_add_nc_u32_e32 v154, 0x800, v134
	v_add3_u32 v159, 0, v26, v27
	v_fma_f64 v[74:75], v[74:75], v[166:167], -v[54:55]
	v_add_f64_e32 v[0:1], v[94:95], v[92:93]
	v_fma_f64 v[100:101], v[125:126], v[96:97], v[4:5]
	v_fma_f64 v[96:97], v[170:171], v[56:57], v[58:59]
	v_add_f64_e32 v[4:5], v[18:19], v[36:37]
	v_add_f64_e32 v[54:55], v[210:211], v[18:19]
	;; [unrolled: 1-line block ×3, first 2 shown]
	v_add_f64_e64 v[86:87], v[98:99], -v[78:79]
	v_add_f64_e32 v[82:83], v[206:207], v[70:71]
	v_fma_f64 v[120:121], v[190:191], v[128:129], v[32:33]
	v_add_f64_e32 v[32:33], v[44:45], v[66:67]
	v_fma_f64 v[118:119], v[24:25], v[166:167], v[50:51]
	v_add_f64_e32 v[50:51], v[162:163], v[94:95]
	v_fma_f64 v[8:9], v[8:9], -0.5, v[208:209]
	v_add_f64_e32 v[58:59], v[198:199], v[38:39]
	v_add_f64_e64 v[124:125], v[102:103], -v[88:89]
	v_fma_f64 v[28:29], v[28:29], -0.5, v[198:199]
	v_add_f64_e64 v[128:129], v[104:105], -v[90:91]
	v_fma_f64 v[34:35], v[34:35], -0.5, v[200:201]
	;; [unrolled: 2-line block ×3, first 2 shown]
	v_add_f64_e64 v[150:151], v[110:111], -v[116:117]
	v_add_f64_e32 v[60:61], v[60:61], v[42:43]
	s_wait_alu 0xf1ff
	v_cndmask_b32_e64 v126, 0, 0x6c0, s0
	v_add_f64_e32 v[62:63], v[62:63], v[68:69]
	v_add_f64_e32 v[80:81], v[80:81], v[66:67]
	v_cmp_gt_u32_e64 s0, 27, v164
	s_delay_alu instid0(VALU_DEP_4)
	v_add3_u32 v155, 0, v126, v127
	v_and_b32_e32 v126, 0xffff, v2
	v_and_b32_e32 v127, 0xffff, v3
	v_add_f64_e32 v[24:25], v[70:71], v[74:75]
	v_fma_f64 v[0:1], v[0:1], -0.5, v[162:163]
	v_add_f64_e64 v[52:53], v[100:101], -v[40:41]
	v_add_f64_e64 v[84:85], v[96:97], -v[76:77]
	v_fma_f64 v[4:5], v[4:5], -0.5, v[210:211]
	v_add_f64_e32 v[54:55], v[54:55], v[36:37]
	v_add_f64_e32 v[56:57], v[56:57], v[20:21]
	;; [unrolled: 1-line block ×3, first 2 shown]
	v_fma_f64 v[32:33], v[32:33], -0.5, v[204:205]
	v_add_f64_e64 v[156:157], v[120:121], -v[118:119]
	v_add_f64_e32 v[50:51], v[50:51], v[92:93]
	v_add_f64_e32 v[58:59], v[58:59], v[46:47]
	v_fma_f64 v[168:169], v[128:129], s[6:7], v[34:35]
	v_fma_f64 v[34:35], v[128:129], s[8:9], v[34:35]
	;; [unrolled: 1-line block ×4, first 2 shown]
	v_fma_f64 v[24:25], v[24:25], -0.5, v[206:207]
	v_fma_f64 v[82:83], v[52:53], s[6:7], v[0:1]
	v_fma_f64 v[52:53], v[52:53], s[8:9], v[0:1]
	;; [unrolled: 1-line block ×12, first 2 shown]
	v_mul_u32_u24_e32 v24, 0x6c0, v126
	v_mul_u32_u24_e32 v25, 0x6c0, v127
	v_lshl_add_u32 v156, v143, 3, 0
	v_add3_u32 v157, 0, v30, v31
	ds_load_b64 v[130:131], v142
	ds_load_b64 v[128:129], v139
	;; [unrolled: 1-line block ×4, first 2 shown]
	v_add3_u32 v162, 0, v24, v6
	v_add3_u32 v161, 0, v25, v7
	v_add_nc_u32_e32 v158, 0x2800, v156
	global_wb scope:SCOPE_SE
	s_wait_dscnt 0x0
	s_barrier_signal -1
	s_barrier_wait -1
	global_inv scope:SCOPE_SE
	ds_store_2addr_b64 v134, v[50:51], v[82:83] offset1:72
	ds_store_b64 v134, v[52:53] offset:1152
	ds_store_2addr_b64 v155, v[54:55], v[166:167] offset1:72
	ds_store_b64 v155, v[4:5] offset:1152
	;; [unrolled: 2-line block ×7, first 2 shown]
	ds_store_2addr_b64 v158, v[136:137], v[0:1] offset0:16 offset1:88
	ds_store_b64 v156, v[2:3] offset:11520
	global_wb scope:SCOPE_SE
	s_wait_dscnt 0x0
	s_barrier_signal -1
	s_barrier_wait -1
	global_inv scope:SCOPE_SE
	ds_load_b64 v[142:143], v145
	ds_load_b64 v[140:141], v144
	ds_load_b64 v[150:151], v134 offset:11376
	ds_load_2addr_b64 v[24:27], v134 offset1:216
	ds_load_2addr_b64 v[52:55], v154 offset0:176 offset1:239
	ds_load_2addr_b64 v[84:87], v153 offset0:46 offset1:136
	;; [unrolled: 1-line block ×8, first 2 shown]
	v_sub_nc_u32_e32 v4, 0, v138
                                        ; implicit-def: $vgpr6_vgpr7
	s_delay_alu instid0(VALU_DEP_1)
	v_add_nc_u32_e32 v135, v135, v4
	s_and_saveexec_b32 s1, s0
	s_cbranch_execz .LBB0_15
; %bb.14:
	v_add_nc_u32_e32 v0, 0xc00, v134
	v_add_nc_u32_e32 v4, 0x1a00, v134
	;; [unrolled: 1-line block ×3, first 2 shown]
	ds_load_b64 v[136:137], v135
	ds_load_2addr_b64 v[0:3], v0 offset0:21 offset1:237
	ds_load_2addr_b64 v[4:7], v4 offset0:5 offset1:221
	;; [unrolled: 1-line block ×3, first 2 shown]
.LBB0_15:
	s_wait_alu 0xfffe
	s_or_b32 exec_lo, exec_lo, s1
	v_add_f64_e32 v[138:139], v[100:101], v[40:41]
	v_add_f64_e32 v[166:167], v[96:97], v[76:77]
	;; [unrolled: 1-line block ×9, first 2 shown]
	v_add_f64_e64 v[92:93], v[94:95], -v[92:93]
	v_add_f64_e32 v[94:95], v[14:15], v[96:97]
	v_add_f64_e32 v[96:97], v[122:123], v[98:99]
	v_add_f64_e64 v[18:19], v[18:19], -v[36:37]
	v_add_f64_e32 v[98:99], v[130:131], v[102:103]
	v_add_f64_e64 v[16:17], v[16:17], -v[20:21]
	v_add_f64_e64 v[36:37], v[38:39], -v[46:47]
	v_add_f64_e32 v[102:103], v[128:129], v[104:105]
	v_add_f64_e64 v[22:23], v[22:23], -v[42:43]
	v_add_f64_e32 v[104:105], v[126:127], v[106:107]
	;; [unrolled: 2-line block ×4, first 2 shown]
	v_add_f64_e64 v[68:69], v[70:71], -v[74:75]
	global_wb scope:SCOPE_SE
	s_wait_dscnt 0x0
	s_barrier_signal -1
	s_barrier_wait -1
	global_inv scope:SCOPE_SE
	v_fma_f64 v[72:73], v[138:139], -0.5, v[72:73]
	v_fma_f64 v[14:15], v[166:167], -0.5, v[14:15]
	;; [unrolled: 1-line block ×8, first 2 shown]
	v_add_f64_e32 v[40:41], v[100:101], v[40:41]
	v_add_f64_e32 v[74:75], v[94:95], v[76:77]
	;; [unrolled: 1-line block ×8, first 2 shown]
	v_fma_f64 v[96:97], v[92:93], s[8:9], v[72:73]
	v_fma_f64 v[72:73], v[92:93], s[6:7], v[72:73]
	;; [unrolled: 1-line block ×16, first 2 shown]
	ds_store_2addr_b64 v134, v[40:41], v[96:97] offset1:72
	ds_store_b64 v134, v[72:73] offset:1152
	ds_store_2addr_b64 v155, v[74:75], v[92:93] offset1:72
	ds_store_b64 v155, v[18:19] offset:1152
	;; [unrolled: 2-line block ×7, first 2 shown]
	ds_store_2addr_b64 v158, v[138:139], v[12:13] offset0:16 offset1:88
	ds_store_b64 v156, v[14:15] offset:11520
	global_wb scope:SCOPE_SE
	s_wait_dscnt 0x0
	s_barrier_signal -1
	s_barrier_wait -1
	global_inv scope:SCOPE_SE
	ds_load_2addr_b64 v[36:39], v134 offset1:216
	ds_load_2addr_b64 v[68:71], v154 offset0:176 offset1:239
	ds_load_2addr_b64 v[92:95], v153 offset0:46 offset1:136
	;; [unrolled: 1-line block ×8, first 2 shown]
	ds_load_b64 v[146:147], v145
	ds_load_b64 v[144:145], v144
	ds_load_b64 v[152:153], v134 offset:11376
                                        ; implicit-def: $vgpr22_vgpr23
                                        ; implicit-def: $vgpr18_vgpr19
	s_and_saveexec_b32 s1, s0
	s_cbranch_execz .LBB0_17
; %bb.16:
	v_add_nc_u32_e32 v12, 0xc00, v134
	v_add_nc_u32_e32 v16, 0x1a00, v134
	;; [unrolled: 1-line block ×3, first 2 shown]
	ds_load_b64 v[138:139], v135
	ds_load_2addr_b64 v[12:15], v12 offset0:21 offset1:237
	ds_load_2addr_b64 v[16:19], v16 offset0:5 offset1:221
	;; [unrolled: 1-line block ×3, first 2 shown]
.LBB0_17:
	s_wait_alu 0xfffe
	s_or_b32 exec_lo, exec_lo, s1
	s_and_saveexec_b32 s1, vcc_lo
	s_cbranch_execz .LBB0_20
; %bb.18:
	v_mul_u32_u24_e32 v96, 6, v164
	v_mul_i32_i24_e32 v148, 6, v133
	v_lshrrev_b32_e32 v118, 3, v164
	v_mul_lo_u32 v116, s3, v114
	v_mul_lo_u32 v117, s2, v115
	v_dual_mov_b32 v149, 0 :: v_dual_lshlrev_b32 v120, 4, v96
	s_delay_alu instid0(VALU_DEP_4)
	v_mul_hi_u32 v121, 0x97b425f, v118
	v_mad_co_u64_u32 v[114:115], null, s2, v114, 0
	global_load_b128 v[100:103], v120, s[4:5] offset:3456
	v_lshlrev_b64_e32 v[96:97], 4, v[148:149]
	v_mul_i32_i24_e32 v148, 6, v132
	v_lshlrev_b64_e32 v[158:159], 4, v[112:113]
	s_mov_b32 s14, 0xe976ee23
	v_mul_lo_u32 v166, 0xd8, v121
	v_add3_u32 v115, v115, v117, v116
	v_add_co_u32 v156, vcc_lo, s4, v96
	s_wait_alu 0xfffd
	v_add_co_ci_u32_e32 v157, vcc_lo, s5, v97, vcc_lo
	v_lshlrev_b64_e32 v[104:105], 4, v[148:149]
	v_lshlrev_b64_e32 v[160:161], 4, v[114:115]
	s_clause 0x1
	global_load_b128 v[96:99], v[156:157], off offset:3440
	global_load_b128 v[108:111], v120, s[4:5] offset:3504
	v_sub_nc_u32_e32 v209, v164, v166
	s_mov_b32 s18, 0x37e14327
	v_add_co_u32 v154, vcc_lo, s4, v104
	s_wait_alu 0xfffd
	v_add_co_ci_u32_e32 v155, vcc_lo, s5, v105, vcc_lo
	v_add_nc_u32_e32 v221, 0x438, v209
	v_add_co_u32 v160, vcc_lo, s10, v160
	s_clause 0x1
	global_load_b128 v[104:107], v[154:155], off offset:3504
	global_load_b128 v[116:119], v120, s[4:5] offset:3472
	v_mad_co_u64_u32 v[202:203], null, s16, v221, 0
	v_add_nc_u32_e32 v218, 0x1b0, v209
	s_wait_alu 0xfffd
	v_add_co_ci_u32_e32 v161, vcc_lo, s11, v161, vcc_lo
	v_add_nc_u32_e32 v220, 0x360, v209
	v_add_co_u32 v166, vcc_lo, v160, v158
	v_mad_co_u64_u32 v[196:197], null, s16, v218, 0
	v_add_nc_u32_e32 v148, 63, v164
	s_wait_alu 0xfffd
	v_add_co_ci_u32_e32 v167, vcc_lo, v161, v159, vcc_lo
	v_mad_co_u64_u32 v[200:201], null, s16, v220, 0
	s_delay_alu instid0(VALU_DEP_4)
	v_dual_mov_b32 v159, v197 :: v_dual_add_nc_u32 v162, 0x7e, v164
	v_lshrrev_b32_e32 v112, 3, v148
	s_clause 0x2
	global_load_b128 v[132:135], v120, s[4:5] offset:3440
	global_load_b128 v[128:131], v120, s[4:5] offset:3424
	;; [unrolled: 1-line block ×3, first 2 shown]
	v_mad_co_u64_u32 v[192:193], null, s16, v209, 0
	v_lshrrev_b32_e32 v113, 3, v162
	v_mul_hi_u32 v163, 0x97b425f, v112
	v_add_nc_u32_e32 v217, 0xd8, v209
	v_add_nc_u32_e32 v222, 0x510, v209
	s_mov_b32 s12, 0x36b3c0b5
	v_mul_hi_u32 v207, 0x97b425f, v113
	s_clause 0x7
	global_load_b128 v[120:123], v[156:157], off offset:3424
	global_load_b128 v[168:171], v[156:157], off offset:3504
	;; [unrolled: 1-line block ×8, first 2 shown]
	v_mul_lo_u32 v156, 0xd8, v163
	s_mov_b32 s10, 0x429ad128
	s_mov_b32 s15, 0xbfe11646
	;; [unrolled: 1-line block ×3, first 2 shown]
	v_mul_lo_u32 v157, 0xd8, v207
	s_mov_b32 s13, 0x3fac98ee
	s_mov_b32 s11, 0x3febfeb5
	;; [unrolled: 1-line block ×3, first 2 shown]
	v_sub_nc_u32_e32 v148, v148, v156
	s_mov_b32 s6, 0xaaaaaaaa
	s_mov_b32 s24, 0x5476071b
	;; [unrolled: 1-line block ×4, first 2 shown]
	v_mad_co_u64_u32 v[204:205], null, 0x5e8, v163, v[148:149]
	v_mov_b32_e32 v163, v201
	v_sub_nc_u32_e32 v156, v162, v157
	v_dual_mov_b32 v148, v193 :: v_dual_mov_b32 v193, v203
	v_mad_co_u64_u32 v[194:195], null, s16, v217, 0
	v_add_nc_u32_e32 v219, 0x288, v209
	v_mad_co_u64_u32 v[205:206], null, s16, v222, 0
	s_mov_b32 s21, 0xbfd5d0dc
	s_mov_b32 s25, 0xbfe77f67
	;; [unrolled: 1-line block ×3, first 2 shown]
	s_wait_alu 0xfffe
	s_mov_b32 s20, s8
	s_mov_b32 s22, s24
	;; [unrolled: 1-line block ×4, first 2 shown]
	s_wait_loadcnt_dscnt 0xf09
	v_mul_f64_e32 v[157:158], v[94:95], v[102:103]
	v_mul_f64_e32 v[102:103], v[86:87], v[102:103]
	s_wait_loadcnt 0xe
	v_mul_f64_e32 v[160:161], v[92:93], v[98:99]
	v_mul_f64_e32 v[98:99], v[84:85], v[98:99]
	s_wait_loadcnt_dscnt 0xd06
	v_mul_f64_e32 v[211:212], v[88:89], v[110:111]
	v_mul_f64_e32 v[213:214], v[80:81], v[110:111]
	v_mad_co_u64_u32 v[207:208], null, 0x5e8, v207, v[156:157]
	v_fma_f64 v[110:111], v[94:95], v[100:101], v[102:103]
	v_fma_f64 v[156:157], v[86:87], v[100:101], -v[157:158]
	v_mad_co_u64_u32 v[208:209], null, s17, v209, v[148:149]
	v_mov_b32_e32 v148, v195
	v_mad_co_u64_u32 v[198:199], null, s16, v219, 0
	v_mov_b32_e32 v195, v206
	v_mad_co_u64_u32 v[209:210], null, s16, v204, 0
	s_delay_alu instid0(VALU_DEP_4)
	v_mad_co_u64_u32 v[86:87], null, s17, v217, v[148:149]
	v_mad_co_u64_u32 v[94:95], null, s17, v218, v[159:160]
	v_fma_f64 v[160:161], v[84:85], v[96:97], -v[160:161]
	s_wait_loadcnt 0xc
	v_mul_f64_e32 v[84:85], v[90:91], v[106:107]
	v_fma_f64 v[158:159], v[92:93], v[96:97], v[98:99]
	v_mul_f64_e32 v[92:93], v[82:83], v[106:107]
	v_mov_b32_e32 v162, v199
	v_add_nc_u32_e32 v236, 0xd8, v204
	v_mad_co_u64_u32 v[215:216], null, s16, v207, 0
	v_add_nc_u32_e32 v237, 0x1b0, v204
	s_delay_alu instid0(VALU_DEP_4)
	v_mad_co_u64_u32 v[100:101], null, s17, v219, v[162:163]
	v_mad_co_u64_u32 v[101:102], null, s17, v220, v[163:164]
	;; [unrolled: 1-line block ×3, first 2 shown]
	v_mov_b32_e32 v193, v208
	v_mad_co_u64_u32 v[217:218], null, s17, v222, v[195:196]
	v_mov_b32_e32 v195, v86
	v_mad_co_u64_u32 v[218:219], null, s16, v236, 0
	v_dual_mov_b32 v197, v94 :: v_dual_add_nc_u32 v238, 0x288, v204
	s_delay_alu instid0(VALU_DEP_4)
	v_dual_mov_b32 v206, v217 :: v_dual_add_nc_u32 v239, 0x360, v204
	v_dual_mov_b32 v201, v101 :: v_dual_add_nc_u32 v242, 0xd8, v207
	v_fma_f64 v[162:163], v[80:81], v[108:109], -v[211:212]
	v_mov_b32_e32 v80, v210
	v_mad_co_u64_u32 v[220:221], null, s16, v237, 0
	v_dual_mov_b32 v199, v100 :: v_dual_add_nc_u32 v240, 0x438, v204
	v_add_nc_u32_e32 v241, 0x510, v204
	v_dual_mov_b32 v81, v216 :: v_dual_add_nc_u32 v244, 0x360, v207
	v_mad_co_u64_u32 v[222:223], null, s16, v238, 0
	v_mad_co_u64_u32 v[224:225], null, s16, v239, 0
	;; [unrolled: 1-line block ×3, first 2 shown]
	v_dual_mov_b32 v203, v102 :: v_dual_add_nc_u32 v148, 0x1b0, v207
	v_mad_co_u64_u32 v[211:212], null, s16, v240, 0
	v_fma_f64 v[108:109], v[88:89], v[108:109], v[213:214]
	v_mad_co_u64_u32 v[94:95], null, s17, v204, v[80:81]
	v_mov_b32_e32 v80, v219
	v_mad_co_u64_u32 v[213:214], null, s16, v241, 0
	v_add_nc_u32_e32 v243, 0x288, v207
	v_fma_f64 v[106:107], v[82:83], v[104:105], -v[84:85]
	v_dual_mov_b32 v82, v221 :: v_dual_add_nc_u32 v245, 0x438, v207
	v_mov_b32_e32 v84, v225
	v_mad_co_u64_u32 v[228:229], null, s16, v148, 0
	v_mad_co_u64_u32 v[232:233], null, s16, v244, 0
	v_dual_mov_b32 v83, v223 :: v_dual_add_nc_u32 v246, 0x510, v207
	v_mad_co_u64_u32 v[230:231], null, s16, v243, 0
	v_fma_f64 v[104:105], v[90:91], v[104:105], v[92:93]
	v_mad_co_u64_u32 v[90:91], null, s17, v207, v[81:82]
	v_mov_b32_e32 v81, v227
	v_mad_co_u64_u32 v[234:235], null, s16, v245, 0
	v_dual_mov_b32 v85, v212 :: v_dual_mov_b32 v86, v214
	s_delay_alu instid0(VALU_DEP_3)
	v_mad_co_u64_u32 v[102:103], null, s17, v236, v[80:81]
	v_mad_co_u64_u32 v[207:208], null, s17, v237, v[82:83]
	;; [unrolled: 1-line block ×3, first 2 shown]
	v_dual_mov_b32 v87, v229 :: v_dual_mov_b32 v82, v233
	v_mad_co_u64_u32 v[237:238], null, s17, v239, v[84:85]
	v_mad_co_u64_u32 v[238:239], null, s17, v240, v[85:86]
	v_lshlrev_b64_e32 v[84:85], 4, v[192:193]
	v_dual_mov_b32 v80, v231 :: v_dual_mov_b32 v83, v235
	v_mov_b32_e32 v210, v94
	v_mad_co_u64_u32 v[239:240], null, s17, v242, v[81:82]
	v_mad_co_u64_u32 v[192:193], null, s17, v241, v[86:87]
	;; [unrolled: 1-line block ×4, first 2 shown]
	v_add_co_u32 v88, vcc_lo, v166, v84
	v_mad_co_u64_u32 v[242:243], null, s17, v244, v[82:83]
	v_mad_co_u64_u32 v[243:244], null, s17, v245, v[83:84]
	s_wait_alu 0xfffd
	v_add_co_ci_u32_e32 v89, vcc_lo, v167, v85, vcc_lo
	s_clause 0x1
	global_load_b128 v[80:83], v[154:155], off offset:3472
	global_load_b128 v[84:87], v[154:155], off offset:3456
	v_lshlrev_b64_e32 v[91:92], 4, v[194:195]
	v_lshlrev_b64_e32 v[95:96], 4, v[196:197]
	;; [unrolled: 1-line block ×3, first 2 shown]
	v_dual_mov_b32 v216, v90 :: v_dual_mov_b32 v219, v102
	v_lshlrev_b64_e32 v[99:100], 4, v[200:201]
	v_add_co_u32 v90, vcc_lo, v166, v91
	s_wait_alu 0xfffd
	v_add_co_ci_u32_e32 v91, vcc_lo, v167, v92, vcc_lo
	v_add_co_u32 v92, vcc_lo, v166, v95
	s_wait_alu 0xfffd
	v_add_co_ci_u32_e32 v93, vcc_lo, v167, v96, vcc_lo
	v_lshlrev_b64_e32 v[154:155], 4, v[202:203]
	v_add_co_u32 v94, vcc_lo, v166, v97
	s_wait_alu 0xfffd
	v_add_co_ci_u32_e32 v95, vcc_lo, v167, v98, vcc_lo
	v_add_co_u32 v96, vcc_lo, v166, v99
	s_wait_alu 0xfffd
	v_add_co_ci_u32_e32 v97, vcc_lo, v167, v100, vcc_lo
	v_add_co_u32 v98, vcc_lo, v166, v154
	s_wait_alu 0xfffd
	v_add_co_ci_u32_e32 v99, vcc_lo, v167, v155, vcc_lo
	s_wait_loadcnt_dscnt 0x800
	v_mul_f64_e32 v[154:155], v[152:153], v[170:171]
	v_mul_f64_e32 v[170:171], v[150:151], v[170:171]
	;; [unrolled: 1-line block ×5, first 2 shown]
	v_lshlrev_b64_e32 v[193:194], 4, v[205:206]
	v_mul_f64_e32 v[199:200], v[26:27], v[130:131]
	v_mul_f64_e32 v[201:202], v[66:67], v[126:127]
	s_wait_loadcnt 0x7
	v_mul_f64_e32 v[203:204], v[74:75], v[114:115]
	v_mul_f64_e32 v[114:115], v[58:59], v[114:115]
	v_dual_mov_b32 v223, v236 :: v_dual_mov_b32 v214, v192
	v_add_co_u32 v100, vcc_lo, v166, v193
	s_wait_alu 0xfffd
	v_add_co_ci_u32_e32 v101, vcc_lo, v167, v194, vcc_lo
	v_mad_co_u64_u32 v[193:194], null, s16, v246, 0
	v_mov_b32_e32 v225, v237
	v_dual_mov_b32 v221, v207 :: v_dual_mov_b32 v212, v238
	v_lshlrev_b64_e32 v[207:208], 4, v[222:223]
	v_mov_b32_e32 v227, v239
	v_dual_mov_b32 v231, v241 :: v_dual_mov_b32 v102, v194
	s_delay_alu instid0(VALU_DEP_4) | instskip(SKIP_2) | instid1(VALU_DEP_4)
	v_lshlrev_b64_e32 v[205:206], 4, v[220:221]
	v_mov_b32_e32 v233, v242
	v_mov_b32_e32 v235, v243
	v_mad_co_u64_u32 v[102:103], null, s17, v246, v[102:103]
	s_delay_alu instid0(VALU_DEP_1)
	v_dual_mov_b32 v229, v240 :: v_dual_mov_b32 v194, v102
	v_fma_f64 v[130:131], v[150:151], v[168:169], -v[154:155]
	v_mul_f64_e32 v[150:151], v[50:51], v[126:127]
	v_fma_f64 v[126:127], v[152:153], v[168:169], v[170:171]
	v_lshlrev_b64_e32 v[170:171], 4, v[209:210]
	v_mul_f64_e32 v[152:153], v[40:41], v[118:119]
	v_mul_f64_e32 v[154:155], v[28:29], v[118:119]
	;; [unrolled: 1-line block ×4, first 2 shown]
	v_fma_f64 v[195:196], v[52:53], v[132:133], -v[195:196]
	v_add_co_u32 v102, vcc_lo, v166, v170
	s_wait_alu 0xfffd
	v_add_co_ci_u32_e32 v103, vcc_lo, v167, v171, vcc_lo
	s_wait_loadcnt 0x4
	v_mul_f64_e32 v[170:171], v[76:77], v[182:183]
	v_mul_f64_e32 v[182:183], v[60:61], v[182:183]
	v_fma_f64 v[132:133], v[68:69], v[132:133], v[134:135]
	s_wait_loadcnt 0x3
	v_mul_f64_e32 v[134:135], v[54:55], v[186:187]
	v_mul_f64_e32 v[186:187], v[70:71], v[186:187]
	v_fma_f64 v[197:198], v[26:27], v[128:129], -v[197:198]
	s_wait_loadcnt 0x2
	v_mul_f64_e32 v[26:27], v[56:57], v[190:191]
	v_mul_f64_e32 v[190:191], v[72:73], v[190:191]
	v_fma_f64 v[128:129], v[38:39], v[128:129], v[199:200]
	v_fma_f64 v[199:200], v[50:51], v[124:125], -v[201:202]
	v_mul_f64_e32 v[201:202], v[46:47], v[178:179]
	v_fma_f64 v[203:204], v[58:59], v[112:113], -v[203:204]
	v_fma_f64 v[74:75], v[74:75], v[112:113], v[114:115]
	v_lshlrev_b64_e32 v[209:210], 4, v[224:225]
	v_add_nc_u32_e32 v118, 0xbd, v164
	v_lshlrev_b64_e32 v[58:59], 4, v[226:227]
	v_lshlrev_b64_e32 v[52:53], 4, v[228:229]
	;; [unrolled: 1-line block ×4, first 2 shown]
	v_cmp_gt_u32_e32 vcc_lo, 0xd8, v118
	v_fma_f64 v[124:125], v[66:67], v[124:125], v[150:151]
	v_mul_f64_e32 v[150:151], v[64:65], v[174:175]
	v_mul_f64_e32 v[174:175], v[48:49], v[174:175]
	v_fma_f64 v[152:153], v[28:29], v[116:117], -v[152:153]
	v_fma_f64 v[116:117], v[40:41], v[116:117], v[154:155]
	v_mul_f64_e32 v[154:155], v[34:35], v[178:179]
	v_fma_f64 v[68:69], v[62:63], v[120:121], -v[168:169]
	v_fma_f64 v[78:79], v[78:79], v[120:121], v[122:123]
	v_lshlrev_b64_e32 v[168:169], 4, v[215:216]
	v_lshlrev_b64_e32 v[178:179], 4, v[218:219]
	;; [unrolled: 1-line block ×4, first 2 shown]
	v_fma_f64 v[60:61], v[60:61], v[180:181], -v[170:171]
	v_fma_f64 v[76:77], v[76:77], v[180:181], v[182:183]
	v_lshlrev_b64_e32 v[62:63], 4, v[213:214]
	v_fma_f64 v[70:71], v[70:71], v[184:185], v[134:135]
	v_fma_f64 v[54:55], v[54:55], v[184:185], -v[186:187]
	v_lshlrev_b64_e32 v[40:41], 4, v[232:233]
	v_fma_f64 v[72:73], v[72:73], v[188:189], v[26:27]
	v_fma_f64 v[56:57], v[56:57], v[188:189], -v[190:191]
	v_add_f64_e32 v[114:115], v[128:129], v[108:109]
	v_add_f64_e32 v[134:135], v[195:196], v[199:200]
	v_fma_f64 v[112:113], v[34:35], v[176:177], -v[201:202]
	v_add_co_u32 v26, s1, v166, v168
	s_wait_alu 0xf1ff
	v_add_co_ci_u32_e64 v27, s1, v167, v169, s1
	v_add_f64_e64 v[108:109], v[128:129], -v[108:109]
	v_add_co_u32 v34, s1, v166, v178
	s_wait_alu 0xf1ff
	v_add_co_ci_u32_e64 v35, s1, v167, v179, s1
	v_fma_f64 v[48:49], v[48:49], v[172:173], -v[150:151]
	v_fma_f64 v[64:65], v[64:65], v[172:173], v[174:175]
	v_add_f64_e64 v[168:169], v[152:153], -v[156:157]
	v_add_f64_e32 v[152:153], v[152:153], v[156:157]
	v_fma_f64 v[46:47], v[46:47], v[176:177], v[154:155]
	v_add_f64_e32 v[150:151], v[68:69], v[130:131]
	v_add_f64_e64 v[156:157], v[195:196], -v[199:200]
	v_add_f64_e64 v[68:69], v[68:69], -v[130:131]
	v_add_co_u32 v154, s1, v166, v205
	s_wait_alu 0xf1ff
	v_add_co_ci_u32_e64 v155, s1, v167, v206, s1
	v_add_f64_e32 v[170:171], v[60:61], v[106:107]
	v_add_co_u32 v174, s1, v166, v207
	s_wait_alu 0xf1ff
	v_add_co_ci_u32_e64 v175, s1, v167, v208, s1
	v_add_f64_e32 v[172:173], v[54:55], v[56:57]
	v_add_f64_e64 v[54:55], v[54:55], -v[56:57]
	v_add_f64_e64 v[56:57], v[60:61], -v[106:107]
	;; [unrolled: 1-line block ×3, first 2 shown]
	v_add_f64_e32 v[48:49], v[48:49], v[112:113]
	v_add_f64_e64 v[182:183], v[152:153], -v[134:135]
	v_add_f64_e32 v[176:177], v[64:65], v[46:47]
	v_add_f64_e64 v[46:47], v[64:65], -v[46:47]
	v_add_f64_e64 v[64:65], v[158:159], -v[74:75]
	v_add_f64_e32 v[106:107], v[168:169], v[156:157]
	v_add_f64_e32 v[184:185], v[170:171], v[172:173]
	v_add_f64_e64 v[194:195], v[150:151], -v[48:49]
	v_mul_f64_e32 v[182:183], s[12:13], v[182:183]
	v_add_f64_e32 v[200:201], v[46:47], v[64:65]
	s_wait_loadcnt 0x1
	v_mul_f64_e32 v[119:120], v[42:43], v[82:83]
	s_wait_loadcnt 0x0
	v_mul_f64_e32 v[121:122], v[44:45], v[86:87]
	v_mul_f64_e32 v[86:87], v[32:33], v[86:87]
	;; [unrolled: 1-line block ×3, first 2 shown]
	s_delay_alu instid0(VALU_DEP_4) | instskip(NEXT) | instid1(VALU_DEP_4)
	v_fma_f64 v[30:31], v[30:31], v[80:81], -v[119:120]
	v_fma_f64 v[32:33], v[32:33], v[84:85], -v[121:122]
	v_add_f64_e32 v[119:120], v[132:133], v[124:125]
	v_add_f64_e32 v[121:122], v[197:198], v[162:163]
	v_fma_f64 v[44:45], v[44:45], v[84:85], v[86:87]
	v_fma_f64 v[42:43], v[42:43], v[80:81], v[82:83]
	v_add_f64_e32 v[80:81], v[116:117], v[110:111]
	v_add_f64_e64 v[82:83], v[197:198], -v[162:163]
	v_add_f64_e32 v[162:163], v[160:161], v[203:204]
	v_add_f64_e64 v[110:111], v[116:117], -v[110:111]
	v_add_f64_e64 v[116:117], v[132:133], -v[124:125]
	v_add_f64_e32 v[123:124], v[76:77], v[104:105]
	v_add_f64_e32 v[132:133], v[70:71], v[72:73]
	;; [unrolled: 1-line block ×4, first 2 shown]
	v_add_f64_e64 v[160:161], v[160:161], -v[203:204]
	v_add_f64_e64 v[78:79], v[78:79], -v[126:127]
	;; [unrolled: 1-line block ×3, first 2 shown]
	v_add_co_u32 v158, s1, v166, v209
	s_wait_alu 0xf1ff
	v_add_co_ci_u32_e64 v159, s1, v167, v210, s1
	v_add_f64_e64 v[125:126], v[30:31], -v[32:33]
	v_add_f64_e32 v[74:75], v[114:115], v[119:120]
	v_add_f64_e32 v[112:113], v[121:122], v[134:135]
	;; [unrolled: 1-line block ×4, first 2 shown]
	v_add_f64_e64 v[32:33], v[42:43], -v[44:45]
	v_add_f64_e64 v[42:43], v[70:71], -v[72:73]
	v_add_f64_e32 v[72:73], v[150:151], v[162:163]
	v_add_f64_e64 v[70:71], v[76:77], -v[104:105]
	v_add_f64_e64 v[76:77], v[82:83], -v[168:169]
	;; [unrolled: 1-line block ×3, first 2 shown]
	v_add_f64_e32 v[178:179], v[123:124], v[132:133]
	v_add_f64_e64 v[130:131], v[114:115], -v[80:81]
	v_add_f64_e32 v[44:45], v[84:85], v[86:87]
	v_add_f64_e64 v[168:169], v[168:169], -v[156:157]
	v_add_f64_e64 v[156:157], v[156:157], -v[82:83]
	;; [unrolled: 1-line block ×3, first 2 shown]
	v_add_f64_e32 v[188:189], v[110:111], v[116:117]
	v_add_f64_e64 v[116:117], v[116:117], -v[108:109]
	v_add_f64_e64 v[180:181], v[121:122], -v[152:153]
	;; [unrolled: 1-line block ×5, first 2 shown]
	v_add_f64_e32 v[134:135], v[128:129], v[160:161]
	v_add_f64_e64 v[190:191], v[84:85], -v[176:177]
	v_add_f64_e64 v[192:193], v[176:177], -v[86:87]
	;; [unrolled: 1-line block ×8, first 2 shown]
	v_add_f64_e32 v[82:83], v[82:83], v[106:107]
	v_add_f64_e64 v[127:128], v[68:69], -v[128:129]
	v_add_f64_e32 v[78:79], v[78:79], v[200:201]
	v_add_f64_e64 v[46:47], v[125:126], -v[54:55]
	v_add_f64_e32 v[74:75], v[80:81], v[74:75]
	v_add_f64_e32 v[80:81], v[152:153], v[112:113]
	v_add_f64_e64 v[112:113], v[160:161], -v[68:69]
	v_add_f64_e64 v[152:153], v[54:55], -v[56:57]
	v_add_f64_e32 v[54:55], v[125:126], v[54:55]
	v_add_f64_e64 v[160:161], v[32:33], -v[42:43]
	v_add_f64_e32 v[72:73], v[48:49], v[72:73]
	v_add_f64_e64 v[202:203], v[123:124], -v[60:61]
	v_add_f64_e64 v[48:49], v[60:61], -v[132:133]
	;; [unrolled: 1-line block ×4, first 2 shown]
	v_add_f64_e32 v[60:61], v[60:61], v[178:179]
	v_add_f64_e64 v[178:179], v[170:171], -v[30:31]
	v_add_f64_e64 v[170:171], v[172:173], -v[170:171]
	v_add_f64_e32 v[172:173], v[30:31], v[184:185]
	v_add_f64_e32 v[162:163], v[176:177], v[44:45]
	v_add_f64_e64 v[176:177], v[42:43], -v[70:71]
	v_add_f64_e32 v[204:205], v[32:33], v[42:43]
	v_mul_f64_e32 v[104:105], s[12:13], v[104:105]
	v_mul_f64_e32 v[184:185], s[18:19], v[130:131]
	;; [unrolled: 1-line block ×4, first 2 shown]
	v_add_f64_e64 v[208:209], v[70:71], -v[32:33]
	v_mul_f64_e32 v[106:107], s[14:15], v[186:187]
	v_mul_f64_e32 v[186:187], s[10:11], v[116:117]
	;; [unrolled: 1-line block ×3, first 2 shown]
	v_add_f64_e64 v[125:126], v[56:57], -v[125:126]
	v_add_f64_e32 v[108:109], v[108:109], v[188:189]
	v_mul_f64_e32 v[188:189], s[12:13], v[192:193]
	v_mul_f64_e32 v[192:193], s[18:19], v[190:191]
	;; [unrolled: 1-line block ×3, first 2 shown]
	v_add_f64_e32 v[32:33], v[36:37], v[74:75]
	v_add_f64_e32 v[30:31], v[24:25], v[80:81]
	;; [unrolled: 1-line block ×3, first 2 shown]
	v_mul_f64_e32 v[36:37], s[10:11], v[112:113]
	v_mul_f64_e32 v[68:69], s[14:15], v[121:122]
	;; [unrolled: 1-line block ×9, first 2 shown]
	v_add_f64_e32 v[54:55], v[56:57], v[54:55]
	v_mul_f64_e32 v[56:57], s[12:13], v[132:133]
	v_add_f64_e32 v[48:49], v[144:145], v[60:61]
	v_mul_f64_e32 v[132:133], s[18:19], v[178:179]
	v_add_f64_e32 v[46:47], v[140:141], v[172:173]
	v_add_f64_e32 v[44:45], v[146:147], v[162:163]
	;; [unrolled: 1-line block ×3, first 2 shown]
	v_mul_f64_e32 v[142:143], s[10:11], v[176:177]
	v_mul_f64_e32 v[146:147], s[18:19], v[194:195]
	v_fma_f64 v[129:130], v[130:131], s[18:19], v[104:105]
	v_fma_f64 v[140:141], v[114:115], s[24:25], -v[184:185]
	v_fma_f64 v[104:105], v[114:115], s[22:23], -v[104:105]
	;; [unrolled: 1-line block ×3, first 2 shown]
	v_fma_f64 v[76:77], v[76:77], s[8:9], v[168:169]
	v_fma_f64 v[144:145], v[156:157], s[10:11], -v[168:169]
	v_fma_f64 v[156:157], v[180:181], s[18:19], v[182:183]
	v_fma_f64 v[180:181], v[110:111], s[8:9], v[106:107]
	v_fma_f64 v[110:111], v[110:111], s[20:21], -v[186:187]
	v_fma_f64 v[106:107], v[116:117], s[10:11], -v[106:107]
	;; [unrolled: 1-line block ×4, first 2 shown]
	v_add_f64_e32 v[70:71], v[70:71], v[204:205]
	v_fma_f64 v[116:117], v[190:191], s[18:19], v[188:189]
	v_fma_f64 v[182:183], v[84:85], s[24:25], -v[192:193]
	v_fma_f64 v[84:85], v[84:85], s[22:23], -v[188:189]
	v_fma_f64 v[74:75], v[74:75], s[6:7], v[32:33]
	v_fma_f64 v[80:81], v[80:81], s[6:7], v[30:31]
	v_fma_f64 v[36:37], v[127:128], s[20:21], -v[36:37]
	v_fma_f64 v[127:128], v[127:128], s[8:9], v[68:69]
	v_fma_f64 v[68:69], v[112:113], s[10:11], -v[68:69]
	;; [unrolled: 2-line block ×6, first 2 shown]
	v_fma_f64 v[123:124], v[123:124], s[22:23], -v[212:213]
	v_fma_f64 v[178:179], v[178:179], s[18:19], v[56:57]
	v_fma_f64 v[60:61], v[60:61], s[6:7], v[48:49]
	v_fma_f64 v[131:132], v[170:171], s[24:25], -v[132:133]
	v_fma_f64 v[56:57], v[170:171], s[22:23], -v[56:57]
	v_fma_f64 v[170:171], v[172:173], s[6:7], v[46:47]
	v_fma_f64 v[162:163], v[162:163], s[6:7], v[44:45]
	v_fma_f64 v[142:143], v[208:209], s[20:21], -v[142:143]
	v_add_co_u32 v172, s1, v166, v66
	v_fma_f64 v[184:185], v[150:151], s[8:9], v[134:135]
	v_fma_f64 v[72:73], v[72:73], s[6:7], v[42:43]
	s_wait_alu 0xf1ff
	v_add_co_ci_u32_e64 v173, s1, v167, v67, s1
	v_fma_f64 v[66:67], v[150:151], s[20:21], -v[200:201]
	v_fma_f64 v[146:147], v[86:87], s[24:25], -v[146:147]
	;; [unrolled: 1-line block ×4, first 2 shown]
	s_wait_alu 0xfffe
	v_fma_f64 v[76:77], v[82:83], s[2:3], v[76:77]
	v_fma_f64 v[121:122], v[108:109], s[2:3], v[180:181]
	;; [unrolled: 1-line block ×6, first 2 shown]
	v_add_f64_e32 v[108:109], v[129:130], v[74:75]
	v_add_f64_e32 v[129:130], v[156:157], v[80:81]
	;; [unrolled: 1-line block ×6, first 2 shown]
	v_fma_f64 v[104:105], v[24:25], s[2:3], v[127:128]
	v_fma_f64 v[150:151], v[54:55], s[2:3], v[186:187]
	;; [unrolled: 1-line block ×8, first 2 shown]
	v_add_f64_e32 v[168:169], v[176:177], v[60:61]
	v_add_f64_e32 v[176:177], v[190:191], v[60:61]
	;; [unrolled: 1-line block ×7, first 2 shown]
	v_fma_f64 v[162:163], v[70:71], s[2:3], v[142:143]
	v_add_f64_e32 v[180:181], v[131:132], v[170:171]
	v_add_f64_e32 v[131:132], v[56:57], v[170:171]
	v_fma_f64 v[119:120], v[78:79], s[2:3], v[184:185]
	v_add_f64_e32 v[112:113], v[112:113], v[72:73]
	v_fma_f64 v[182:183], v[78:79], s[2:3], v[66:67]
	v_add_f64_e32 v[186:187], v[146:147], v[72:73]
	v_add_f64_e32 v[86:87], v[86:87], v[72:73]
	v_fma_f64 v[184:185], v[78:79], s[2:3], v[64:65]
	v_add_co_u32 v170, s1, v166, v62
	s_wait_alu 0xf1ff
	v_add_co_ci_u32_e64 v171, s1, v167, v63, s1
	v_add_co_u32 v188, s1, v166, v58
	v_add_f64_e32 v[56:57], v[76:77], v[108:109]
	v_add_f64_e64 v[76:77], v[108:109], -v[76:77]
	v_add_f64_e64 v[72:73], v[133:134], -v[114:115]
	v_add_f64_e64 v[64:65], v[74:75], -v[82:83]
	v_add_f64_e32 v[68:69], v[82:83], v[74:75]
	v_add_f64_e32 v[74:75], v[121:122], v[129:130]
	;; [unrolled: 1-line block ×3, first 2 shown]
	v_add_f64_e64 v[66:67], v[80:81], -v[106:107]
	v_add_f64_e32 v[62:63], v[106:107], v[80:81]
	s_wait_alu 0xf1ff
	v_add_co_ci_u32_e64 v189, s1, v167, v59, s1
	v_add_f64_e32 v[60:61], v[114:115], v[133:134]
	v_add_f64_e64 v[58:59], v[140:141], -v[110:111]
	v_add_f64_e64 v[54:55], v[129:130], -v[121:122]
	v_add_f64_e32 v[129:130], v[150:151], v[176:177]
	v_add_f64_e64 v[133:134], v[123:124], -v[152:153]
	v_add_f64_e32 v[142:143], v[152:153], v[123:124]
	v_add_f64_e64 v[146:147], v[176:177], -v[150:151]
	v_add_f64_e64 v[152:153], v[168:169], -v[127:128]
	v_add_f64_e32 v[150:151], v[156:157], v[178:179]
	v_add_f64_e64 v[106:107], v[144:145], -v[24:25]
	v_add_f64_e32 v[110:111], v[24:25], v[144:145]
	v_add_f64_e32 v[144:145], v[162:163], v[180:181]
	v_add_f64_e64 v[140:141], v[131:132], -v[160:161]
	v_add_f64_e32 v[131:132], v[160:161], v[131:132]
	v_add_f64_e32 v[84:85], v[36:37], v[125:126]
	v_add_f64_e64 v[114:115], v[125:126], -v[36:37]
	v_add_f64_e32 v[125:126], v[127:128], v[168:169]
	v_add_f64_e64 v[127:128], v[180:181], -v[162:163]
	v_add_f64_e64 v[123:124], v[178:179], -v[156:157]
	;; [unrolled: 1-line block ×4, first 2 shown]
	v_add_f64_e32 v[119:120], v[119:120], v[112:113]
	v_add_f64_e32 v[112:113], v[182:183], v[186:187]
	v_add_f64_e64 v[108:109], v[86:87], -v[184:185]
	v_add_f64_e32 v[80:81], v[104:105], v[116:117]
	v_add_f64_e32 v[104:105], v[184:185], v[86:87]
	v_add_f64_e64 v[82:83], v[186:187], -v[182:183]
	v_add_co_u32 v24, s1, v166, v52
	s_wait_alu 0xf1ff
	v_add_co_ci_u32_e64 v25, s1, v167, v53, s1
	v_add_co_u32 v36, s1, v166, v50
	s_wait_alu 0xf1ff
	v_add_co_ci_u32_e64 v37, s1, v167, v51, s1
	;; [unrolled: 3-line block ×5, first 2 shown]
	s_clause 0x14
	global_store_b128 v[88:89], v[30:33], off
	global_store_b128 v[90:91], v[74:77], off
	;; [unrolled: 1-line block ×21, first 2 shown]
	s_and_b32 exec_lo, exec_lo, vcc_lo
	s_cbranch_execz .LBB0_20
; %bb.19:
	v_subrev_nc_u32_e32 v24, 27, v164
	v_add_nc_u32_e32 v60, 0x195, v164
	v_add_nc_u32_e32 v61, 0x26d, v164
	;; [unrolled: 1-line block ×4, first 2 shown]
	v_cndmask_b32_e64 v24, v24, v165, s0
	v_add_nc_u32_e32 v64, 0x4f5, v164
	v_add_nc_u32_e32 v65, 0x5cd, v164
	s_delay_alu instid0(VALU_DEP_3) | instskip(NEXT) | instid1(VALU_DEP_1)
	v_mul_i32_i24_e32 v148, 6, v24
	v_lshlrev_b64_e32 v[24:25], 4, v[148:149]
	s_delay_alu instid0(VALU_DEP_1) | instskip(SKIP_1) | instid1(VALU_DEP_2)
	v_add_co_u32 v44, vcc_lo, s4, v24
	s_wait_alu 0xfffd
	v_add_co_ci_u32_e32 v45, vcc_lo, s5, v25, vcc_lo
	s_clause 0x5
	global_load_b128 v[24:27], v[44:45], off offset:3424
	global_load_b128 v[28:31], v[44:45], off offset:3440
	;; [unrolled: 1-line block ×6, first 2 shown]
	s_wait_loadcnt 0x5
	v_mul_f64_e32 v[48:49], v[12:13], v[26:27]
	v_mul_f64_e32 v[26:27], v[0:1], v[26:27]
	s_wait_loadcnt 0x4
	v_mul_f64_e32 v[50:51], v[14:15], v[30:31]
	v_mul_f64_e32 v[30:31], v[2:3], v[30:31]
	;; [unrolled: 3-line block ×6, first 2 shown]
	v_fma_f64 v[0:1], v[0:1], v[24:25], -v[48:49]
	v_fma_f64 v[12:13], v[12:13], v[24:25], v[26:27]
	v_fma_f64 v[2:3], v[2:3], v[28:29], -v[50:51]
	v_fma_f64 v[14:15], v[14:15], v[28:29], v[30:31]
	;; [unrolled: 2-line block ×6, first 2 shown]
	v_mad_co_u64_u32 v[48:49], null, s16, v65, 0
	v_add_f64_e32 v[24:25], v[0:1], v[10:11]
	v_add_f64_e32 v[26:27], v[12:13], v[22:23]
	v_add_f64_e32 v[28:29], v[2:3], v[8:9]
	v_add_f64_e32 v[30:31], v[14:15], v[20:21]
	v_add_f64_e64 v[2:3], v[2:3], -v[8:9]
	v_add_f64_e64 v[8:9], v[14:15], -v[20:21]
	v_add_f64_e32 v[14:15], v[4:5], v[6:7]
	v_add_f64_e32 v[20:21], v[16:17], v[18:19]
	v_add_f64_e64 v[4:5], v[6:7], -v[4:5]
	v_add_f64_e64 v[6:7], v[18:19], -v[16:17]
	;; [unrolled: 1-line block ×4, first 2 shown]
	v_add_f64_e32 v[0:1], v[28:29], v[24:25]
	v_add_f64_e32 v[16:17], v[30:31], v[26:27]
	v_add_f64_e64 v[18:19], v[24:25], -v[14:15]
	v_add_f64_e64 v[22:23], v[26:27], -v[20:21]
	;; [unrolled: 1-line block ×6, first 2 shown]
	v_add_f64_e32 v[42:43], v[4:5], v[2:3]
	v_add_f64_e32 v[8:9], v[6:7], v[8:9]
	v_add_f64_e64 v[4:5], v[10:11], -v[4:5]
	v_add_f64_e64 v[6:7], v[12:13], -v[6:7]
	;; [unrolled: 1-line block ×4, first 2 shown]
	v_add_f64_e32 v[40:41], v[14:15], v[0:1]
	v_add_f64_e32 v[16:17], v[20:21], v[16:17]
	v_add_f64_e64 v[14:15], v[14:15], -v[28:29]
	v_add_f64_e64 v[20:21], v[20:21], -v[30:31]
	v_mul_f64_e32 v[18:19], s[18:19], v[18:19]
	v_mul_f64_e32 v[22:23], s[18:19], v[22:23]
	;; [unrolled: 1-line block ×6, first 2 shown]
	v_add_f64_e32 v[10:11], v[42:43], v[10:11]
	v_add_f64_e32 v[8:9], v[8:9], v[12:13]
	;; [unrolled: 1-line block ×4, first 2 shown]
	v_mul_f64_e32 v[28:29], s[12:13], v[14:15]
	v_mul_f64_e32 v[30:31], s[12:13], v[20:21]
	v_fma_f64 v[12:13], v[14:15], s[12:13], v[18:19]
	v_fma_f64 v[14:15], v[20:21], s[12:13], v[22:23]
	v_fma_f64 v[20:21], v[4:5], s[8:9], v[32:33]
	v_fma_f64 v[42:43], v[6:7], s[8:9], v[34:35]
	v_fma_f64 v[32:33], v[36:37], s[10:11], -v[32:33]
	v_fma_f64 v[34:35], v[38:39], s[10:11], -v[34:35]
	;; [unrolled: 1-line block ×6, first 2 shown]
	v_mad_co_u64_u32 v[38:39], null, s16, v61, 0
	v_mad_co_u64_u32 v[44:45], null, s16, v63, 0
	;; [unrolled: 1-line block ×3, first 2 shown]
	v_fma_f64 v[36:37], v[40:41], s[6:7], v[0:1]
	v_fma_f64 v[16:17], v[16:17], s[6:7], v[2:3]
	v_fma_f64 v[24:25], v[24:25], s[22:23], -v[28:29]
	v_fma_f64 v[26:27], v[26:27], s[22:23], -v[30:31]
	v_mad_co_u64_u32 v[28:29], null, s16, v118, 0
	v_fma_f64 v[50:51], v[10:11], s[2:3], v[20:21]
	v_fma_f64 v[42:43], v[8:9], s[2:3], v[42:43]
	;; [unrolled: 1-line block ×5, first 2 shown]
	v_mov_b32_e32 v10, v49
	v_fma_f64 v[52:53], v[8:9], s[2:3], v[6:7]
	v_mad_co_u64_u32 v[30:31], null, s16, v60, 0
	v_mad_co_u64_u32 v[40:41], null, s16, v62, 0
	v_mov_b32_e32 v6, v39
	v_dual_mov_b32 v8, v45 :: v_dual_mov_b32 v9, v47
	s_delay_alu instid0(VALU_DEP_4) | instskip(SKIP_2) | instid1(VALU_DEP_3)
	v_mad_co_u64_u32 v[4:5], null, s17, v118, v[29:30]
	v_mov_b32_e32 v5, v31
	v_mov_b32_e32 v7, v41
	;; [unrolled: 1-line block ×3, first 2 shown]
	s_delay_alu instid0(VALU_DEP_1)
	v_lshlrev_b64_e32 v[28:29], 4, v[28:29]
	v_add_f64_e32 v[54:55], v[12:13], v[36:37]
	v_add_f64_e32 v[56:57], v[14:15], v[16:17]
	;; [unrolled: 1-line block ×6, first 2 shown]
	v_mad_co_u64_u32 v[11:12], null, s17, v60, v[5:6]
	v_mad_co_u64_u32 v[5:6], null, s17, v61, v[6:7]
	;; [unrolled: 1-line block ×6, first 2 shown]
	v_mov_b32_e32 v39, v5
	v_mov_b32_e32 v41, v6
	;; [unrolled: 1-line block ×5, first 2 shown]
	v_lshlrev_b64_e32 v[36:37], 4, v[38:39]
	v_mov_b32_e32 v49, v9
	v_add_co_u32 v28, vcc_lo, v166, v28
	v_lshlrev_b64_e32 v[30:31], 4, v[30:31]
	s_wait_alu 0xfffd
	v_add_co_ci_u32_e32 v29, vcc_lo, v167, v29, vcc_lo
	v_lshlrev_b64_e32 v[38:39], 4, v[40:41]
	v_lshlrev_b64_e32 v[40:41], 4, v[48:49]
	s_delay_alu instid0(VALU_DEP_4)
	v_add_co_u32 v30, vcc_lo, v166, v30
	s_wait_alu 0xfffd
	v_add_co_ci_u32_e32 v31, vcc_lo, v167, v31, vcc_lo
	v_add_co_u32 v36, vcc_lo, v166, v36
	v_add_f64_e32 v[4:5], v[42:43], v[54:55]
	v_add_f64_e64 v[6:7], v[56:57], -v[50:51]
	v_add_f64_e32 v[8:9], v[52:53], v[58:59]
	v_add_f64_e64 v[10:11], v[22:23], -v[34:35]
	v_add_f64_e64 v[12:13], v[18:19], -v[32:33]
	v_add_f64_e32 v[14:15], v[20:21], v[24:25]
	v_add_f64_e32 v[16:17], v[32:33], v[18:19]
	v_add_f64_e64 v[18:19], v[24:25], -v[20:21]
	v_add_f64_e64 v[20:21], v[58:59], -v[52:53]
	v_add_f64_e32 v[22:23], v[34:35], v[22:23]
	v_add_f64_e64 v[24:25], v[54:55], -v[42:43]
	v_add_f64_e32 v[26:27], v[50:51], v[56:57]
	v_lshlrev_b64_e32 v[32:33], 4, v[44:45]
	s_wait_alu 0xfffd
	v_add_co_ci_u32_e32 v37, vcc_lo, v167, v37, vcc_lo
	v_lshlrev_b64_e32 v[34:35], 4, v[46:47]
	v_add_co_u32 v38, vcc_lo, v166, v38
	s_wait_alu 0xfffd
	v_add_co_ci_u32_e32 v39, vcc_lo, v167, v39, vcc_lo
	v_add_co_u32 v32, vcc_lo, v166, v32
	s_wait_alu 0xfffd
	v_add_co_ci_u32_e32 v33, vcc_lo, v167, v33, vcc_lo
	;; [unrolled: 3-line block ×4, first 2 shown]
	s_clause 0x6
	global_store_b128 v[28:29], v[0:3], off
	global_store_b128 v[30:31], v[4:7], off
	;; [unrolled: 1-line block ×7, first 2 shown]
.LBB0_20:
	s_nop 0
	s_sendmsg sendmsg(MSG_DEALLOC_VGPRS)
	s_endpgm
	.section	.rodata,"a",@progbits
	.p2align	6, 0x0
	.amdhsa_kernel fft_rtc_fwd_len1512_factors_2_2_2_3_3_3_7_wgs_63_tpt_63_halfLds_dp_op_CI_CI_sbrr_dirReg
		.amdhsa_group_segment_fixed_size 0
		.amdhsa_private_segment_fixed_size 0
		.amdhsa_kernarg_size 104
		.amdhsa_user_sgpr_count 2
		.amdhsa_user_sgpr_dispatch_ptr 0
		.amdhsa_user_sgpr_queue_ptr 0
		.amdhsa_user_sgpr_kernarg_segment_ptr 1
		.amdhsa_user_sgpr_dispatch_id 0
		.amdhsa_user_sgpr_private_segment_size 0
		.amdhsa_wavefront_size32 1
		.amdhsa_uses_dynamic_stack 0
		.amdhsa_enable_private_segment 0
		.amdhsa_system_sgpr_workgroup_id_x 1
		.amdhsa_system_sgpr_workgroup_id_y 0
		.amdhsa_system_sgpr_workgroup_id_z 0
		.amdhsa_system_sgpr_workgroup_info 0
		.amdhsa_system_vgpr_workitem_id 0
		.amdhsa_next_free_vgpr 247
		.amdhsa_next_free_sgpr 43
		.amdhsa_reserve_vcc 1
		.amdhsa_float_round_mode_32 0
		.amdhsa_float_round_mode_16_64 0
		.amdhsa_float_denorm_mode_32 3
		.amdhsa_float_denorm_mode_16_64 3
		.amdhsa_fp16_overflow 0
		.amdhsa_workgroup_processor_mode 1
		.amdhsa_memory_ordered 1
		.amdhsa_forward_progress 0
		.amdhsa_round_robin_scheduling 0
		.amdhsa_exception_fp_ieee_invalid_op 0
		.amdhsa_exception_fp_denorm_src 0
		.amdhsa_exception_fp_ieee_div_zero 0
		.amdhsa_exception_fp_ieee_overflow 0
		.amdhsa_exception_fp_ieee_underflow 0
		.amdhsa_exception_fp_ieee_inexact 0
		.amdhsa_exception_int_div_zero 0
	.end_amdhsa_kernel
	.text
.Lfunc_end0:
	.size	fft_rtc_fwd_len1512_factors_2_2_2_3_3_3_7_wgs_63_tpt_63_halfLds_dp_op_CI_CI_sbrr_dirReg, .Lfunc_end0-fft_rtc_fwd_len1512_factors_2_2_2_3_3_3_7_wgs_63_tpt_63_halfLds_dp_op_CI_CI_sbrr_dirReg
                                        ; -- End function
	.section	.AMDGPU.csdata,"",@progbits
; Kernel info:
; codeLenInByte = 21040
; NumSgprs: 45
; NumVgprs: 247
; ScratchSize: 0
; MemoryBound: 1
; FloatMode: 240
; IeeeMode: 1
; LDSByteSize: 0 bytes/workgroup (compile time only)
; SGPRBlocks: 5
; VGPRBlocks: 30
; NumSGPRsForWavesPerEU: 45
; NumVGPRsForWavesPerEU: 247
; Occupancy: 5
; WaveLimiterHint : 1
; COMPUTE_PGM_RSRC2:SCRATCH_EN: 0
; COMPUTE_PGM_RSRC2:USER_SGPR: 2
; COMPUTE_PGM_RSRC2:TRAP_HANDLER: 0
; COMPUTE_PGM_RSRC2:TGID_X_EN: 1
; COMPUTE_PGM_RSRC2:TGID_Y_EN: 0
; COMPUTE_PGM_RSRC2:TGID_Z_EN: 0
; COMPUTE_PGM_RSRC2:TIDIG_COMP_CNT: 0
	.text
	.p2alignl 7, 3214868480
	.fill 96, 4, 3214868480
	.type	__hip_cuid_a7836ae7720c821c,@object ; @__hip_cuid_a7836ae7720c821c
	.section	.bss,"aw",@nobits
	.globl	__hip_cuid_a7836ae7720c821c
__hip_cuid_a7836ae7720c821c:
	.byte	0                               ; 0x0
	.size	__hip_cuid_a7836ae7720c821c, 1

	.ident	"AMD clang version 19.0.0git (https://github.com/RadeonOpenCompute/llvm-project roc-6.4.0 25133 c7fe45cf4b819c5991fe208aaa96edf142730f1d)"
	.section	".note.GNU-stack","",@progbits
	.addrsig
	.addrsig_sym __hip_cuid_a7836ae7720c821c
	.amdgpu_metadata
---
amdhsa.kernels:
  - .args:
      - .actual_access:  read_only
        .address_space:  global
        .offset:         0
        .size:           8
        .value_kind:     global_buffer
      - .offset:         8
        .size:           8
        .value_kind:     by_value
      - .actual_access:  read_only
        .address_space:  global
        .offset:         16
        .size:           8
        .value_kind:     global_buffer
      - .actual_access:  read_only
        .address_space:  global
        .offset:         24
        .size:           8
        .value_kind:     global_buffer
      - .actual_access:  read_only
        .address_space:  global
        .offset:         32
        .size:           8
        .value_kind:     global_buffer
      - .offset:         40
        .size:           8
        .value_kind:     by_value
      - .actual_access:  read_only
        .address_space:  global
        .offset:         48
        .size:           8
        .value_kind:     global_buffer
      - .actual_access:  read_only
        .address_space:  global
        .offset:         56
        .size:           8
        .value_kind:     global_buffer
      - .offset:         64
        .size:           4
        .value_kind:     by_value
      - .actual_access:  read_only
        .address_space:  global
        .offset:         72
        .size:           8
        .value_kind:     global_buffer
      - .actual_access:  read_only
        .address_space:  global
        .offset:         80
        .size:           8
        .value_kind:     global_buffer
      - .actual_access:  read_only
        .address_space:  global
        .offset:         88
        .size:           8
        .value_kind:     global_buffer
      - .actual_access:  write_only
        .address_space:  global
        .offset:         96
        .size:           8
        .value_kind:     global_buffer
    .group_segment_fixed_size: 0
    .kernarg_segment_align: 8
    .kernarg_segment_size: 104
    .language:       OpenCL C
    .language_version:
      - 2
      - 0
    .max_flat_workgroup_size: 63
    .name:           fft_rtc_fwd_len1512_factors_2_2_2_3_3_3_7_wgs_63_tpt_63_halfLds_dp_op_CI_CI_sbrr_dirReg
    .private_segment_fixed_size: 0
    .sgpr_count:     45
    .sgpr_spill_count: 0
    .symbol:         fft_rtc_fwd_len1512_factors_2_2_2_3_3_3_7_wgs_63_tpt_63_halfLds_dp_op_CI_CI_sbrr_dirReg.kd
    .uniform_work_group_size: 1
    .uses_dynamic_stack: false
    .vgpr_count:     247
    .vgpr_spill_count: 0
    .wavefront_size: 32
    .workgroup_processor_mode: 1
amdhsa.target:   amdgcn-amd-amdhsa--gfx1201
amdhsa.version:
  - 1
  - 2
...

	.end_amdgpu_metadata
